;; amdgpu-corpus repo=ROCm/rocFFT kind=compiled arch=gfx1030 opt=O3
	.text
	.amdgcn_target "amdgcn-amd-amdhsa--gfx1030"
	.amdhsa_code_object_version 6
	.protected	fft_rtc_fwd_len3240_factors_3_3_10_6_6_wgs_108_tpt_108_halfLds_half_ip_CI_unitstride_sbrr_dirReg ; -- Begin function fft_rtc_fwd_len3240_factors_3_3_10_6_6_wgs_108_tpt_108_halfLds_half_ip_CI_unitstride_sbrr_dirReg
	.globl	fft_rtc_fwd_len3240_factors_3_3_10_6_6_wgs_108_tpt_108_halfLds_half_ip_CI_unitstride_sbrr_dirReg
	.p2align	8
	.type	fft_rtc_fwd_len3240_factors_3_3_10_6_6_wgs_108_tpt_108_halfLds_half_ip_CI_unitstride_sbrr_dirReg,@function
fft_rtc_fwd_len3240_factors_3_3_10_6_6_wgs_108_tpt_108_halfLds_half_ip_CI_unitstride_sbrr_dirReg: ; @fft_rtc_fwd_len3240_factors_3_3_10_6_6_wgs_108_tpt_108_halfLds_half_ip_CI_unitstride_sbrr_dirReg
; %bb.0:
	s_clause 0x2
	s_load_dwordx4 s[8:11], s[4:5], 0x0
	s_load_dwordx2 s[2:3], s[4:5], 0x50
	s_load_dwordx2 s[12:13], s[4:5], 0x18
	v_mul_u32_u24_e32 v1, 0x25f, v0
	v_mov_b32_e32 v3, 0
	v_add_nc_u32_sdwa v5, s6, v1 dst_sel:DWORD dst_unused:UNUSED_PAD src0_sel:DWORD src1_sel:WORD_1
	v_mov_b32_e32 v1, 0
	v_mov_b32_e32 v6, v3
	v_mov_b32_e32 v2, 0
	s_waitcnt lgkmcnt(0)
	v_cmp_lt_u64_e64 s0, s[10:11], 2
	s_and_b32 vcc_lo, exec_lo, s0
	s_cbranch_vccnz .LBB0_8
; %bb.1:
	s_load_dwordx2 s[0:1], s[4:5], 0x10
	v_mov_b32_e32 v1, 0
	s_add_u32 s6, s12, 8
	v_mov_b32_e32 v2, 0
	s_addc_u32 s7, s13, 0
	s_mov_b64 s[16:17], 1
	s_waitcnt lgkmcnt(0)
	s_add_u32 s14, s0, 8
	s_addc_u32 s15, s1, 0
.LBB0_2:                                ; =>This Inner Loop Header: Depth=1
	s_load_dwordx2 s[18:19], s[14:15], 0x0
                                        ; implicit-def: $vgpr7_vgpr8
	s_mov_b32 s0, exec_lo
	s_waitcnt lgkmcnt(0)
	v_or_b32_e32 v4, s19, v6
	v_cmpx_ne_u64_e32 0, v[3:4]
	s_xor_b32 s1, exec_lo, s0
	s_cbranch_execz .LBB0_4
; %bb.3:                                ;   in Loop: Header=BB0_2 Depth=1
	v_cvt_f32_u32_e32 v4, s18
	v_cvt_f32_u32_e32 v7, s19
	s_sub_u32 s0, 0, s18
	s_subb_u32 s20, 0, s19
	v_fmac_f32_e32 v4, 0x4f800000, v7
	v_rcp_f32_e32 v4, v4
	v_mul_f32_e32 v4, 0x5f7ffffc, v4
	v_mul_f32_e32 v7, 0x2f800000, v4
	v_trunc_f32_e32 v7, v7
	v_fmac_f32_e32 v4, 0xcf800000, v7
	v_cvt_u32_f32_e32 v7, v7
	v_cvt_u32_f32_e32 v4, v4
	v_mul_lo_u32 v8, s0, v7
	v_mul_hi_u32 v9, s0, v4
	v_mul_lo_u32 v10, s20, v4
	v_add_nc_u32_e32 v8, v9, v8
	v_mul_lo_u32 v9, s0, v4
	v_add_nc_u32_e32 v8, v8, v10
	v_mul_hi_u32 v10, v4, v9
	v_mul_lo_u32 v11, v4, v8
	v_mul_hi_u32 v12, v4, v8
	v_mul_hi_u32 v13, v7, v9
	v_mul_lo_u32 v9, v7, v9
	v_mul_hi_u32 v14, v7, v8
	v_mul_lo_u32 v8, v7, v8
	v_add_co_u32 v10, vcc_lo, v10, v11
	v_add_co_ci_u32_e32 v11, vcc_lo, 0, v12, vcc_lo
	v_add_co_u32 v9, vcc_lo, v10, v9
	v_add_co_ci_u32_e32 v9, vcc_lo, v11, v13, vcc_lo
	v_add_co_ci_u32_e32 v10, vcc_lo, 0, v14, vcc_lo
	v_add_co_u32 v8, vcc_lo, v9, v8
	v_add_co_ci_u32_e32 v9, vcc_lo, 0, v10, vcc_lo
	v_add_co_u32 v4, vcc_lo, v4, v8
	v_add_co_ci_u32_e32 v7, vcc_lo, v7, v9, vcc_lo
	v_mul_hi_u32 v8, s0, v4
	v_mul_lo_u32 v10, s20, v4
	v_mul_lo_u32 v9, s0, v7
	v_add_nc_u32_e32 v8, v8, v9
	v_mul_lo_u32 v9, s0, v4
	v_add_nc_u32_e32 v8, v8, v10
	v_mul_hi_u32 v10, v4, v9
	v_mul_lo_u32 v11, v4, v8
	v_mul_hi_u32 v12, v4, v8
	v_mul_hi_u32 v13, v7, v9
	v_mul_lo_u32 v9, v7, v9
	v_mul_hi_u32 v14, v7, v8
	v_mul_lo_u32 v8, v7, v8
	v_add_co_u32 v10, vcc_lo, v10, v11
	v_add_co_ci_u32_e32 v11, vcc_lo, 0, v12, vcc_lo
	v_add_co_u32 v9, vcc_lo, v10, v9
	v_add_co_ci_u32_e32 v9, vcc_lo, v11, v13, vcc_lo
	v_add_co_ci_u32_e32 v10, vcc_lo, 0, v14, vcc_lo
	v_add_co_u32 v8, vcc_lo, v9, v8
	v_add_co_ci_u32_e32 v9, vcc_lo, 0, v10, vcc_lo
	v_add_co_u32 v4, vcc_lo, v4, v8
	v_add_co_ci_u32_e32 v11, vcc_lo, v7, v9, vcc_lo
	v_mul_hi_u32 v13, v5, v4
	v_mad_u64_u32 v[9:10], null, v6, v4, 0
	v_mad_u64_u32 v[7:8], null, v5, v11, 0
	;; [unrolled: 1-line block ×3, first 2 shown]
	v_add_co_u32 v4, vcc_lo, v13, v7
	v_add_co_ci_u32_e32 v7, vcc_lo, 0, v8, vcc_lo
	v_add_co_u32 v4, vcc_lo, v4, v9
	v_add_co_ci_u32_e32 v4, vcc_lo, v7, v10, vcc_lo
	v_add_co_ci_u32_e32 v7, vcc_lo, 0, v12, vcc_lo
	v_add_co_u32 v4, vcc_lo, v4, v11
	v_add_co_ci_u32_e32 v9, vcc_lo, 0, v7, vcc_lo
	v_mul_lo_u32 v10, s19, v4
	v_mad_u64_u32 v[7:8], null, s18, v4, 0
	v_mul_lo_u32 v11, s18, v9
	v_sub_co_u32 v7, vcc_lo, v5, v7
	v_add3_u32 v8, v8, v11, v10
	v_sub_nc_u32_e32 v10, v6, v8
	v_subrev_co_ci_u32_e64 v10, s0, s19, v10, vcc_lo
	v_add_co_u32 v11, s0, v4, 2
	v_add_co_ci_u32_e64 v12, s0, 0, v9, s0
	v_sub_co_u32 v13, s0, v7, s18
	v_sub_co_ci_u32_e32 v8, vcc_lo, v6, v8, vcc_lo
	v_subrev_co_ci_u32_e64 v10, s0, 0, v10, s0
	v_cmp_le_u32_e32 vcc_lo, s18, v13
	v_cmp_eq_u32_e64 s0, s19, v8
	v_cndmask_b32_e64 v13, 0, -1, vcc_lo
	v_cmp_le_u32_e32 vcc_lo, s19, v10
	v_cndmask_b32_e64 v14, 0, -1, vcc_lo
	v_cmp_le_u32_e32 vcc_lo, s18, v7
	;; [unrolled: 2-line block ×3, first 2 shown]
	v_cndmask_b32_e64 v15, 0, -1, vcc_lo
	v_cmp_eq_u32_e32 vcc_lo, s19, v10
	v_cndmask_b32_e64 v7, v15, v7, s0
	v_cndmask_b32_e32 v10, v14, v13, vcc_lo
	v_add_co_u32 v13, vcc_lo, v4, 1
	v_add_co_ci_u32_e32 v14, vcc_lo, 0, v9, vcc_lo
	v_cmp_ne_u32_e32 vcc_lo, 0, v10
	v_cndmask_b32_e32 v8, v14, v12, vcc_lo
	v_cndmask_b32_e32 v10, v13, v11, vcc_lo
	v_cmp_ne_u32_e32 vcc_lo, 0, v7
	v_cndmask_b32_e32 v8, v9, v8, vcc_lo
	v_cndmask_b32_e32 v7, v4, v10, vcc_lo
.LBB0_4:                                ;   in Loop: Header=BB0_2 Depth=1
	s_andn2_saveexec_b32 s0, s1
	s_cbranch_execz .LBB0_6
; %bb.5:                                ;   in Loop: Header=BB0_2 Depth=1
	v_cvt_f32_u32_e32 v4, s18
	s_sub_i32 s1, 0, s18
	v_rcp_iflag_f32_e32 v4, v4
	v_mul_f32_e32 v4, 0x4f7ffffe, v4
	v_cvt_u32_f32_e32 v4, v4
	v_mul_lo_u32 v7, s1, v4
	v_mul_hi_u32 v7, v4, v7
	v_add_nc_u32_e32 v4, v4, v7
	v_mul_hi_u32 v4, v5, v4
	v_mul_lo_u32 v7, v4, s18
	v_add_nc_u32_e32 v8, 1, v4
	v_sub_nc_u32_e32 v7, v5, v7
	v_subrev_nc_u32_e32 v9, s18, v7
	v_cmp_le_u32_e32 vcc_lo, s18, v7
	v_cndmask_b32_e32 v7, v7, v9, vcc_lo
	v_cndmask_b32_e32 v4, v4, v8, vcc_lo
	v_cmp_le_u32_e32 vcc_lo, s18, v7
	v_add_nc_u32_e32 v8, 1, v4
	v_cndmask_b32_e32 v7, v4, v8, vcc_lo
	v_mov_b32_e32 v8, v3
.LBB0_6:                                ;   in Loop: Header=BB0_2 Depth=1
	s_or_b32 exec_lo, exec_lo, s0
	s_load_dwordx2 s[0:1], s[6:7], 0x0
	v_mul_lo_u32 v4, v8, s18
	v_mul_lo_u32 v11, v7, s19
	v_mad_u64_u32 v[9:10], null, v7, s18, 0
	s_add_u32 s16, s16, 1
	s_addc_u32 s17, s17, 0
	s_add_u32 s6, s6, 8
	s_addc_u32 s7, s7, 0
	;; [unrolled: 2-line block ×3, first 2 shown]
	v_add3_u32 v4, v10, v11, v4
	v_sub_co_u32 v5, vcc_lo, v5, v9
	v_sub_co_ci_u32_e32 v4, vcc_lo, v6, v4, vcc_lo
	s_waitcnt lgkmcnt(0)
	v_mul_lo_u32 v6, s1, v5
	v_mul_lo_u32 v4, s0, v4
	v_mad_u64_u32 v[1:2], null, s0, v5, v[1:2]
	v_cmp_ge_u64_e64 s0, s[16:17], s[10:11]
	s_and_b32 vcc_lo, exec_lo, s0
	v_add3_u32 v2, v6, v2, v4
	s_cbranch_vccnz .LBB0_9
; %bb.7:                                ;   in Loop: Header=BB0_2 Depth=1
	v_mov_b32_e32 v5, v7
	v_mov_b32_e32 v6, v8
	s_branch .LBB0_2
.LBB0_8:
	v_mov_b32_e32 v8, v6
	v_mov_b32_e32 v7, v5
.LBB0_9:
	s_lshl_b64 s[0:1], s[10:11], 3
	v_mul_hi_u32 v5, 0x25ed098, v0
	s_add_u32 s0, s12, s0
	s_addc_u32 s1, s13, s1
                                        ; implicit-def: $vgpr19
                                        ; implicit-def: $vgpr17
                                        ; implicit-def: $vgpr20
                                        ; implicit-def: $vgpr18
                                        ; implicit-def: $vgpr15
                                        ; implicit-def: $vgpr29
                                        ; implicit-def: $vgpr21
                                        ; implicit-def: $vgpr32
                                        ; implicit-def: $vgpr23
                                        ; implicit-def: $vgpr16
                                        ; implicit-def: $vgpr36
                                        ; implicit-def: $vgpr33
                                        ; implicit-def: $vgpr38
                                        ; implicit-def: $vgpr27
                                        ; implicit-def: $vgpr12
                                        ; implicit-def: $vgpr41
                                        ; implicit-def: $vgpr31
                                        ; implicit-def: $vgpr43
                                        ; implicit-def: $vgpr34
                                        ; implicit-def: $vgpr13
                                        ; implicit-def: $vgpr46
                                        ; implicit-def: $vgpr35
                                        ; implicit-def: $vgpr47
                                        ; implicit-def: $vgpr40
                                        ; implicit-def: $vgpr14
                                        ; implicit-def: $vgpr50
                                        ; implicit-def: $vgpr39
                                        ; implicit-def: $vgpr51
                                        ; implicit-def: $vgpr37
                                        ; implicit-def: $vgpr9
                                        ; implicit-def: $vgpr53
                                        ; implicit-def: $vgpr44
                                        ; implicit-def: $vgpr55
                                        ; implicit-def: $vgpr42
                                        ; implicit-def: $vgpr6
                                        ; implicit-def: $vgpr57
                                        ; implicit-def: $vgpr48
                                        ; implicit-def: $vgpr58
                                        ; implicit-def: $vgpr45
                                        ; implicit-def: $vgpr22
                                        ; implicit-def: $vgpr59
                                        ; implicit-def: $vgpr52
                                        ; implicit-def: $vgpr60
                                        ; implicit-def: $vgpr49
                                        ; implicit-def: $vgpr28
                                        ; implicit-def: $vgpr10
                                        ; implicit-def: $vgpr61
                                        ; implicit-def: $vgpr56
                                        ; implicit-def: $vgpr62
                                        ; implicit-def: $vgpr54
                                        ; implicit-def: $vgpr30
                                        ; implicit-def: $vgpr11
	s_load_dwordx2 s[0:1], s[0:1], 0x0
	s_load_dwordx2 s[4:5], s[4:5], 0x20
	s_waitcnt lgkmcnt(0)
	v_mul_lo_u32 v3, s0, v8
	v_mul_lo_u32 v4, s1, v7
	v_mad_u64_u32 v[1:2], null, s0, v7, v[1:2]
	v_cmp_gt_u64_e32 vcc_lo, s[4:5], v[7:8]
                                        ; implicit-def: $vgpr7
                                        ; implicit-def: $vgpr8
	v_add3_u32 v2, v4, v2, v3
	v_mul_u32_u24_e32 v3, 0x6c, v5
                                        ; implicit-def: $vgpr4
                                        ; implicit-def: $vgpr5
	v_lshlrev_b64 v[24:25], 2, v[1:2]
	v_sub_nc_u32_e32 v26, v0, v3
                                        ; implicit-def: $vgpr0
                                        ; implicit-def: $vgpr1
                                        ; implicit-def: $vgpr2
                                        ; implicit-def: $vgpr3
	s_and_saveexec_b32 s1, vcc_lo
	s_cbranch_execz .LBB0_11
; %bb.10:
	v_mov_b32_e32 v27, 0
	v_add_co_u32 v2, s0, s2, v24
	v_add_co_ci_u32_e64 v3, s0, s3, v25, s0
	v_lshlrev_b64 v[0:1], 2, v[26:27]
	v_add_co_u32 v0, s0, v2, v0
	v_add_co_ci_u32_e64 v1, s0, v3, v1, s0
	v_add_co_u32 v2, s0, 0x1000, v0
	v_add_co_ci_u32_e64 v3, s0, 0, v1, s0
	;; [unrolled: 2-line block ×3, first 2 shown]
	s_clause 0x9
	global_load_dword v45, v[2:3], off offset:1088
	global_load_dword v11, v[0:1], off
	global_load_dword v10, v[0:1], off offset:432
	global_load_dword v8, v[0:1], off offset:864
	;; [unrolled: 1-line block ×8, first 2 shown]
	v_add_co_u32 v2, s0, 0x2800, v0
	v_add_co_ci_u32_e64 v3, s0, 0, v1, s0
	v_add_co_u32 v18, s0, 0x800, v0
	v_add_co_ci_u32_e64 v19, s0, 0, v1, s0
	;; [unrolled: 2-line block ×4, first 2 shown]
	s_clause 0x13
	global_load_dword v56, v[4:5], off offset:448
	global_load_dword v52, v[4:5], off offset:880
	;; [unrolled: 1-line block ×20, first 2 shown]
	s_waitcnt vmcnt(29)
	v_lshrrev_b32_e32 v58, 16, v45
	s_waitcnt vmcnt(28)
	v_lshrrev_b32_e32 v30, 16, v11
	;; [unrolled: 2-line block ×12, first 2 shown]
	v_lshrrev_b32_e32 v61, 16, v56
	v_lshrrev_b32_e32 v59, 16, v52
	;; [unrolled: 1-line block ×5, first 2 shown]
	s_waitcnt vmcnt(12)
	v_lshrrev_b32_e32 v4, 16, v14
	s_waitcnt vmcnt(9)
	v_lshrrev_b32_e32 v47, 16, v40
	v_lshrrev_b32_e32 v3, 16, v13
	s_waitcnt vmcnt(8)
	v_lshrrev_b32_e32 v43, 16, v34
	;; [unrolled: 3-line block ×3, first 2 shown]
	s_waitcnt vmcnt(6)
	v_lshrrev_b32_e32 v36, 16, v33
	s_waitcnt vmcnt(5)
	v_lshrrev_b32_e32 v1, 16, v16
	;; [unrolled: 2-line block ×3, first 2 shown]
	v_lshrrev_b32_e32 v29, 16, v21
	s_waitcnt vmcnt(1)
	v_lshrrev_b32_e32 v0, 16, v15
	s_waitcnt vmcnt(0)
	v_lshrrev_b32_e32 v20, 16, v18
	v_lshrrev_b32_e32 v19, 16, v17
.LBB0_11:
	s_or_b32 exec_lo, exec_lo, s1
	v_add_f16_e32 v65, v61, v62
	v_sub_f16_e32 v66, v62, v61
	v_add_f16_e32 v62, v62, v30
	v_add_f16_e32 v63, v56, v54
	;; [unrolled: 1-line block ×3, first 2 shown]
	v_sub_f16_e32 v54, v54, v56
	v_fmac_f16_e32 v30, -0.5, v65
	v_add_f16_e32 v61, v61, v62
	v_add_f16_e32 v62, v52, v49
	;; [unrolled: 1-line block ×4, first 2 shown]
	v_fmamk_f16 v64, v54, 0xbaee, v30
	v_fmac_f16_e32 v30, 0x3aee, v54
	v_add_f16_e32 v54, v59, v60
	v_fmac_f16_e32 v10, -0.5, v62
	v_sub_f16_e32 v62, v60, v59
	v_add_f16_e32 v60, v60, v28
	v_sub_f16_e32 v49, v49, v52
	v_fmac_f16_e32 v28, -0.5, v54
	v_add_f16_e32 v54, v52, v65
	v_fmamk_f16 v52, v62, 0x3aee, v10
	v_add_f16_e32 v59, v59, v60
	v_add_f16_e32 v60, v48, v45
	v_fmac_f16_e32 v10, 0xbaee, v62
	v_fmamk_f16 v62, v49, 0xbaee, v28
	v_fmac_f16_e32 v28, 0x3aee, v49
	v_add_f16_e32 v49, v57, v58
	v_add_f16_e32 v65, v45, v8
	v_fmac_f16_e32 v8, -0.5, v60
	v_sub_f16_e32 v60, v58, v57
	v_add_f16_e32 v58, v58, v22
	v_fmac_f16_e32 v22, -0.5, v49
	v_sub_f16_e32 v45, v45, v48
	v_add_f16_e32 v49, v48, v65
	v_fmamk_f16 v48, v60, 0x3aee, v8
	v_add_f16_e32 v57, v57, v58
	v_add_f16_e32 v58, v44, v42
	v_fmac_f16_e32 v8, 0xbaee, v60
	v_fmamk_f16 v60, v45, 0xbaee, v22
	v_fmac_f16_e32 v22, 0x3aee, v45
	v_add_f16_e32 v45, v53, v55
	v_add_f16_e32 v65, v42, v7
	v_fmac_f16_e32 v7, -0.5, v58
	v_sub_f16_e32 v58, v55, v53
	v_add_f16_e32 v55, v55, v6
	v_fmac_f16_e32 v6, -0.5, v45
	v_sub_f16_e32 v42, v42, v44
	;; [unrolled: 14-line block ×3, first 2 shown]
	v_add_f16_e32 v42, v39, v65
	v_fmamk_f16 v39, v55, 0x3aee, v9
	v_add_f16_e32 v51, v50, v51
	v_add_f16_e32 v50, v35, v40
	v_fmac_f16_e32 v9, 0xbaee, v55
	v_fmamk_f16 v55, v37, 0xbaee, v5
	v_fmac_f16_e32 v5, 0x3aee, v37
	v_add_f16_e32 v37, v46, v47
	v_add_f16_e32 v65, v40, v14
	v_fmac_f16_e32 v14, -0.5, v50
	v_sub_f16_e32 v50, v47, v46
	v_add_f16_e32 v47, v47, v4
	v_fmac_f16_e32 v11, -0.5, v63
	v_fmac_f16_e32 v4, -0.5, v37
	v_add_f16_e32 v37, v35, v65
	v_sub_f16_e32 v35, v40, v35
	v_add_f16_e32 v65, v46, v47
	v_add_f16_e32 v46, v31, v34
	v_fmamk_f16 v63, v66, 0x3aee, v11
	v_fmac_f16_e32 v11, 0xbaee, v66
	v_fmamk_f16 v66, v35, 0xbaee, v4
	v_fmac_f16_e32 v4, 0x3aee, v35
	v_add_f16_e32 v35, v41, v43
	v_add_f16_e32 v47, v34, v13
	v_fmac_f16_e32 v13, -0.5, v46
	v_sub_f16_e32 v46, v43, v41
	v_add_f16_e32 v43, v43, v3
	v_fmac_f16_e32 v3, -0.5, v35
	v_add_f16_e32 v35, v31, v47
	v_sub_f16_e32 v31, v34, v31
	v_mad_u32_u24 v72, v26, 6, 0
	v_add_f16_e32 v67, v41, v43
	v_add_f16_e32 v41, v33, v27
	;; [unrolled: 1-line block ×3, first 2 shown]
	v_fmamk_f16 v68, v31, 0xbaee, v3
	v_fmac_f16_e32 v3, 0x3aee, v31
	v_add_f16_e32 v31, v36, v38
	v_fmac_f16_e32 v12, -0.5, v41
	v_sub_f16_e32 v41, v38, v36
	v_add_f16_e32 v38, v38, v2
	v_sub_f16_e32 v27, v27, v33
	v_fmac_f16_e32 v2, -0.5, v31
	v_fmamk_f16 v40, v50, 0x3aee, v14
	v_fmac_f16_e32 v14, 0xbaee, v50
	v_add_f16_e32 v69, v36, v38
	v_add_f16_e32 v36, v21, v23
	v_fmamk_f16 v70, v27, 0xbaee, v2
	v_fmac_f16_e32 v2, 0x3aee, v27
	v_add_f16_e32 v27, v29, v32
	v_add_f16_e32 v38, v23, v16
	v_fmac_f16_e32 v16, -0.5, v36
	v_sub_f16_e32 v36, v32, v29
	v_add_f16_e32 v32, v32, v1
	v_fmac_f16_e32 v1, -0.5, v27
	v_add_f16_e32 v27, v21, v38
	v_sub_f16_e32 v21, v23, v21
	v_fmamk_f16 v23, v36, 0x3aee, v16
	v_add_f16_e32 v32, v29, v32
	v_add_f16_e32 v29, v17, v18
	v_fmac_f16_e32 v16, 0xbaee, v36
	v_fmamk_f16 v71, v21, 0xbaee, v1
	v_fmac_f16_e32 v1, 0x3aee, v21
	v_add_f16_e32 v21, v19, v20
	v_add_f16_e32 v36, v18, v15
	v_fmac_f16_e32 v15, -0.5, v29
	v_sub_f16_e32 v29, v20, v19
	v_fmamk_f16 v34, v46, 0x3aee, v13
	v_fmac_f16_e32 v13, 0xbaee, v46
	v_add_f16_e32 v31, v33, v43
	v_fmamk_f16 v33, v41, 0x3aee, v12
	v_fmac_f16_e32 v12, 0xbaee, v41
	v_add_f16_e32 v20, v20, v0
	v_fmac_f16_e32 v0, -0.5, v21
	v_add_f16_e32 v21, v17, v36
	v_sub_f16_e32 v17, v18, v17
	v_fmamk_f16 v18, v29, 0x3aee, v15
	v_fmac_f16_e32 v15, 0xbaee, v29
	ds_write_b16 v72, v56
	ds_write_b16 v72, v63 offset:2
	ds_write_b16 v72, v11 offset:4
	;; [unrolled: 1-line block ×28, first 2 shown]
	v_lshl_add_u32 v27, v26, 1, 0
	v_add_f16_e32 v73, v19, v20
	v_fmamk_f16 v74, v17, 0xbaee, v0
	v_fmac_f16_e32 v0, 0x3aee, v17
	ds_write_b16 v72, v15 offset:5836
	s_waitcnt lgkmcnt(0)
	s_barrier
	buffer_gl0_inv
	ds_read_u16 v40, v27 offset:4752
	ds_read_u16 v34, v27 offset:4968
	;; [unrolled: 1-line block ×6, first 2 shown]
	ds_read_u16 v20, v27
	ds_read_u16 v19, v27 offset:216
	ds_read_u16 v18, v27 offset:432
	;; [unrolled: 1-line block ×23, first 2 shown]
	s_waitcnt lgkmcnt(0)
	s_barrier
	buffer_gl0_inv
	ds_write_b16 v72, v61
	ds_write_b16 v72, v64 offset:2
	ds_write_b16 v72, v30 offset:4
	;; [unrolled: 1-line block ×20, first 2 shown]
	v_mov_b32_e32 v67, 0xaaab
	v_add_nc_u32_e32 v28, 0x1b0, v26
	v_and_b32_e32 v10, 0xff, v26
	ds_write_b16 v72, v69 offset:4536
	ds_write_b16 v72, v70 offset:4538
	;; [unrolled: 1-line block ×3, first 2 shown]
	v_add_nc_u32_e32 v31, 0xd8, v26
	ds_write_b16 v72, v32 offset:5184
	v_mul_u32_u24_sdwa v2, v28, v67 dst_sel:DWORD dst_unused:UNUSED_PAD src0_sel:WORD_0 src1_sel:DWORD
	v_mul_lo_u16 v6, 0xab, v10
	ds_write_b16 v72, v71 offset:5186
	ds_write_b16 v72, v1 offset:5188
	;; [unrolled: 1-line block ×4, first 2 shown]
	v_lshrrev_b32_e32 v51, 17, v2
	v_mul_u32_u24_sdwa v2, v31, v67 dst_sel:DWORD dst_unused:UNUSED_PAD src0_sel:WORD_0 src1_sel:DWORD
	v_lshrrev_b16 v22, 9, v6
	ds_write_b16 v72, v0 offset:5836
	v_add_nc_u16 v32, v26, 0x6c
	v_mul_lo_u16 v0, v51, 3
	v_lshrrev_b32_e32 v54, 17, v2
	v_mul_lo_u16 v3, v22, 3
	v_add_nc_u32_e32 v30, 0x144, v26
	v_mov_b32_e32 v70, 3
	v_sub_nc_u16 v52, v28, v0
	v_mul_lo_u16 v0, v54, 3
	v_sub_nc_u16 v53, v26, v3
	v_and_b32_e32 v33, 0xff, v32
	v_mul_u32_u24_sdwa v4, v30, v67 dst_sel:DWORD dst_unused:UNUSED_PAD src0_sel:WORD_0 src1_sel:DWORD
	v_lshlrev_b32_sdwa v6, v70, v52 dst_sel:DWORD dst_unused:UNUSED_PAD src0_sel:DWORD src1_sel:WORD_0
	v_sub_nc_u16 v58, v31, v0
	v_lshlrev_b32_sdwa v1, v70, v53 dst_sel:DWORD dst_unused:UNUSED_PAD src0_sel:DWORD src1_sel:BYTE_0
	v_mul_lo_u16 v5, 0xab, v33
	v_lshrrev_b32_e32 v56, 17, v4
	s_waitcnt lgkmcnt(0)
	v_lshlrev_b32_sdwa v0, v70, v58 dst_sel:DWORD dst_unused:UNUSED_PAD src0_sel:DWORD src1_sel:WORD_0
	s_barrier
	buffer_gl0_inv
	global_load_dwordx2 v[2:3], v1, s[8:9]
	v_lshrrev_b16 v61, 9, v5
	s_clause 0x1
	global_load_dwordx2 v[4:5], v6, s[8:9]
	global_load_dwordx2 v[0:1], v0, s[8:9]
	v_mul_lo_u16 v6, v56, 3
	v_add_nc_u32_e32 v60, 0x21c, v26
	v_add_nc_u32_e32 v64, 0x288, v26
	v_mul_lo_u16 v7, v61, 3
	v_add_nc_u32_e32 v66, 0x2f4, v26
	v_sub_nc_u16 v59, v30, v6
	v_mul_u32_u24_sdwa v6, v60, v67 dst_sel:DWORD dst_unused:UNUSED_PAD src0_sel:WORD_0 src1_sel:DWORD
	v_mul_u32_u24_sdwa v55, v64, v67 dst_sel:DWORD dst_unused:UNUSED_PAD src0_sel:WORD_0 src1_sel:DWORD
	v_sub_nc_u16 v62, v32, v7
	v_mul_u32_u24_sdwa v65, v66, v67 dst_sel:DWORD dst_unused:UNUSED_PAD src0_sel:WORD_0 src1_sel:DWORD
	v_lshlrev_b32_sdwa v7, v70, v59 dst_sel:DWORD dst_unused:UNUSED_PAD src0_sel:DWORD src1_sel:WORD_0
	v_lshrrev_b32_e32 v57, 17, v6
	v_lshrrev_b32_e32 v55, 17, v55
	v_lshlrev_b32_sdwa v8, v70, v62 dst_sel:DWORD dst_unused:UNUSED_PAD src0_sel:DWORD src1_sel:BYTE_0
	s_clause 0x1
	global_load_dwordx2 v[6:7], v7, s[8:9]
	global_load_dwordx2 v[8:9], v8, s[8:9]
	v_mul_lo_u16 v63, v57, 3
	v_mul_lo_u16 v68, v55, 3
	v_add_nc_u32_e32 v69, 0x360, v26
	v_add_nc_u32_e32 v77, 0x3cc, v26
	v_mul_lo_u16 v10, v10, 57
	v_sub_nc_u16 v60, v60, v63
	v_lshrrev_b32_e32 v63, 17, v65
	v_sub_nc_u16 v65, v64, v68
	v_mul_u32_u24_sdwa v64, v69, v67 dst_sel:DWORD dst_unused:UNUSED_PAD src0_sel:WORD_0 src1_sel:DWORD
	v_mul_u32_u24_sdwa v67, v77, v67 dst_sel:DWORD dst_unused:UNUSED_PAD src0_sel:WORD_0 src1_sel:DWORD
	v_lshlrev_b32_sdwa v71, v70, v60 dst_sel:DWORD dst_unused:UNUSED_PAD src0_sel:DWORD src1_sel:WORD_0
	v_mul_lo_u16 v68, v63, 3
	v_lshlrev_b32_sdwa v73, v70, v65 dst_sel:DWORD dst_unused:UNUSED_PAD src0_sel:DWORD src1_sel:WORD_0
	v_lshrrev_b32_e32 v64, 17, v64
	v_lshrrev_b32_e32 v67, 17, v67
	global_load_dwordx2 v[71:72], v71, s[8:9]
	v_sub_nc_u16 v66, v66, v68
	global_load_dwordx2 v[73:74], v73, s[8:9]
	v_mul_lo_u16 v68, v64, 3
	v_cmp_gt_u32_e64 s0, 0x5a, v26
	v_lshlrev_b32_sdwa v75, v70, v66 dst_sel:DWORD dst_unused:UNUSED_PAD src0_sel:DWORD src1_sel:WORD_0
	v_sub_nc_u16 v68, v69, v68
	v_mul_lo_u16 v69, v67, 3
	global_load_dwordx2 v[75:76], v75, s[8:9]
	v_lshlrev_b32_sdwa v78, v70, v68 dst_sel:DWORD dst_unused:UNUSED_PAD src0_sel:DWORD src1_sel:WORD_0
	v_sub_nc_u16 v69, v77, v69
	global_load_dwordx2 v[77:78], v78, s[8:9]
	v_lshlrev_b32_sdwa v70, v70, v69 dst_sel:DWORD dst_unused:UNUSED_PAD src0_sel:DWORD src1_sel:WORD_0
	global_load_dwordx2 v[79:80], v70, s[8:9]
	ds_read_u16 v81, v27 offset:2160
	ds_read_u16 v82, v27 offset:4320
	;; [unrolled: 1-line block ×21, first 2 shown]
	s_waitcnt vmcnt(9) lgkmcnt(20)
	v_mul_f16_sdwa v101, v81, v2 dst_sel:DWORD dst_unused:UNUSED_PAD src0_sel:DWORD src1_sel:WORD_1
	v_mul_f16_sdwa v102, v49, v2 dst_sel:DWORD dst_unused:UNUSED_PAD src0_sel:DWORD src1_sel:WORD_1
	s_waitcnt lgkmcnt(19)
	v_mul_f16_sdwa v103, v82, v3 dst_sel:DWORD dst_unused:UNUSED_PAD src0_sel:DWORD src1_sel:WORD_1
	v_mul_f16_sdwa v104, v50, v3 dst_sel:DWORD dst_unused:UNUSED_PAD src0_sel:DWORD src1_sel:WORD_1
	s_waitcnt vmcnt(8) lgkmcnt(16)
	v_mul_f16_sdwa v105, v85, v4 dst_sel:DWORD dst_unused:UNUSED_PAD src0_sel:DWORD src1_sel:WORD_1
	v_mul_f16_sdwa v106, v45, v4 dst_sel:DWORD dst_unused:UNUSED_PAD src0_sel:DWORD src1_sel:WORD_1
	v_mul_f16_sdwa v107, v83, v5 dst_sel:DWORD dst_unused:UNUSED_PAD src0_sel:DWORD src1_sel:WORD_1
	v_mul_f16_sdwa v108, v48, v5 dst_sel:DWORD dst_unused:UNUSED_PAD src0_sel:DWORD src1_sel:WORD_1
	v_fma_f16 v49, v49, v2, -v101
	s_waitcnt vmcnt(7) lgkmcnt(14)
	v_mul_f16_sdwa v101, v87, v0 dst_sel:DWORD dst_unused:UNUSED_PAD src0_sel:DWORD src1_sel:WORD_1
	v_fmac_f16_e32 v102, v81, v2
	v_mul_f16_sdwa v2, v43, v0 dst_sel:DWORD dst_unused:UNUSED_PAD src0_sel:DWORD src1_sel:WORD_1
	v_fma_f16 v50, v50, v3, -v103
	s_waitcnt lgkmcnt(11)
	v_mul_f16_sdwa v81, v90, v1 dst_sel:DWORD dst_unused:UNUSED_PAD src0_sel:DWORD src1_sel:WORD_1
	v_fmac_f16_e32 v104, v82, v3
	v_fma_f16 v3, v45, v4, -v105
	v_fmac_f16_e32 v106, v85, v4
	v_fma_f16 v4, v48, v5, -v107
	;; [unrolled: 2-line block ×3, first 2 shown]
	v_fmac_f16_e32 v2, v87, v0
	v_mul_f16_sdwa v0, v40, v1 dst_sel:DWORD dst_unused:UNUSED_PAD src0_sel:DWORD src1_sel:WORD_1
	s_waitcnt vmcnt(5)
	v_mul_f16_sdwa v43, v88, v8 dst_sel:DWORD dst_unused:UNUSED_PAD src0_sel:DWORD src1_sel:WORD_1
	v_mul_f16_sdwa v82, v46, v8 dst_sel:DWORD dst_unused:UNUSED_PAD src0_sel:DWORD src1_sel:WORD_1
	s_waitcnt lgkmcnt(10)
	v_mul_f16_sdwa v45, v91, v9 dst_sel:DWORD dst_unused:UNUSED_PAD src0_sel:DWORD src1_sel:WORD_1
	v_fma_f16 v40, v40, v1, -v81
	v_fmac_f16_e32 v0, v90, v1
	v_fma_f16 v1, v46, v8, -v43
	v_fmac_f16_e32 v82, v88, v8
	v_mul_f16_sdwa v8, v47, v9 dst_sel:DWORD dst_unused:UNUSED_PAD src0_sel:DWORD src1_sel:WORD_1
	v_fma_f16 v81, v47, v9, -v45
	v_mul_f16_sdwa v43, v86, v6 dst_sel:DWORD dst_unused:UNUSED_PAD src0_sel:DWORD src1_sel:WORD_1
	v_mul_f16_sdwa v83, v37, v6 dst_sel:DWORD dst_unused:UNUSED_PAD src0_sel:DWORD src1_sel:WORD_1
	v_mul_f16_sdwa v45, v89, v7 dst_sel:DWORD dst_unused:UNUSED_PAD src0_sel:DWORD src1_sel:WORD_1
	v_fmac_f16_e32 v8, v91, v9
	v_mul_f16_sdwa v9, v34, v7 dst_sel:DWORD dst_unused:UNUSED_PAD src0_sel:DWORD src1_sel:WORD_1
	v_fma_f16 v37, v37, v6, -v43
	v_fmac_f16_e32 v83, v86, v6
	v_fma_f16 v6, v34, v7, -v45
	s_waitcnt vmcnt(4)
	v_mul_f16_sdwa v34, v84, v71 dst_sel:DWORD dst_unused:UNUSED_PAD src0_sel:DWORD src1_sel:WORD_1
	v_fmac_f16_e32 v9, v89, v7
	v_mul_f16_sdwa v7, v35, v71 dst_sel:DWORD dst_unused:UNUSED_PAD src0_sel:DWORD src1_sel:WORD_1
	s_waitcnt lgkmcnt(5)
	v_mul_f16_sdwa v43, v96, v72 dst_sel:DWORD dst_unused:UNUSED_PAD src0_sel:DWORD src1_sel:WORD_1
	v_mul_f16_sdwa v85, v44, v72 dst_sel:DWORD dst_unused:UNUSED_PAD src0_sel:DWORD src1_sel:WORD_1
	v_fma_f16 v86, v35, v71, -v34
	s_waitcnt vmcnt(3)
	v_mul_f16_sdwa v34, v92, v73 dst_sel:DWORD dst_unused:UNUSED_PAD src0_sel:DWORD src1_sel:WORD_1
	v_fmac_f16_e32 v7, v84, v71
	v_fma_f16 v71, v44, v72, -v43
	v_fmac_f16_e32 v85, v96, v72
	v_mul_f16_sdwa v72, v41, v73 dst_sel:DWORD dst_unused:UNUSED_PAD src0_sel:DWORD src1_sel:WORD_1
	v_fma_f16 v41, v41, v73, -v34
	s_waitcnt lgkmcnt(4)
	v_mul_f16_sdwa v34, v97, v74 dst_sel:DWORD dst_unused:UNUSED_PAD src0_sel:DWORD src1_sel:WORD_1
	v_mul_f16_sdwa v84, v42, v74 dst_sel:DWORD dst_unused:UNUSED_PAD src0_sel:DWORD src1_sel:WORD_1
	s_waitcnt vmcnt(2)
	v_mul_f16_sdwa v35, v93, v75 dst_sel:DWORD dst_unused:UNUSED_PAD src0_sel:DWORD src1_sel:WORD_1
	v_fmac_f16_e32 v72, v92, v73
	v_mul_f16_sdwa v73, v36, v75 dst_sel:DWORD dst_unused:UNUSED_PAD src0_sel:DWORD src1_sel:WORD_1
	v_fma_f16 v42, v42, v74, -v34
	s_waitcnt lgkmcnt(3)
	v_mul_f16_sdwa v34, v98, v76 dst_sel:DWORD dst_unused:UNUSED_PAD src0_sel:DWORD src1_sel:WORD_1
	ds_read_u16 v88, v27
	v_fmac_f16_e32 v84, v97, v74
	v_fma_f16 v74, v36, v75, -v35
	v_fmac_f16_e32 v73, v93, v75
	v_mul_f16_sdwa v75, v39, v76 dst_sel:DWORD dst_unused:UNUSED_PAD src0_sel:DWORD src1_sel:WORD_1
	s_waitcnt vmcnt(1)
	v_mul_f16_sdwa v35, v94, v77 dst_sel:DWORD dst_unused:UNUSED_PAD src0_sel:DWORD src1_sel:WORD_1
	v_mul_f16_sdwa v87, v23, v77 dst_sel:DWORD dst_unused:UNUSED_PAD src0_sel:DWORD src1_sel:WORD_1
	v_fma_f16 v39, v39, v76, -v34
	s_waitcnt lgkmcnt(3)
	v_mul_f16_sdwa v34, v99, v78 dst_sel:DWORD dst_unused:UNUSED_PAD src0_sel:DWORD src1_sel:WORD_1
	v_fmac_f16_e32 v75, v98, v76
	v_fma_f16 v23, v23, v77, -v35
	v_fmac_f16_e32 v87, v94, v77
	v_mul_f16_sdwa v76, v38, v78 dst_sel:DWORD dst_unused:UNUSED_PAD src0_sel:DWORD src1_sel:WORD_1
	v_fma_f16 v38, v38, v78, -v34
	s_waitcnt vmcnt(0)
	v_mul_f16_sdwa v34, v95, v79 dst_sel:DWORD dst_unused:UNUSED_PAD src0_sel:DWORD src1_sel:WORD_1
	v_mul_f16_sdwa v77, v21, v79 dst_sel:DWORD dst_unused:UNUSED_PAD src0_sel:DWORD src1_sel:WORD_1
	s_waitcnt lgkmcnt(2)
	v_mul_f16_sdwa v35, v100, v80 dst_sel:DWORD dst_unused:UNUSED_PAD src0_sel:DWORD src1_sel:WORD_1
	v_fmac_f16_e32 v76, v99, v78
	v_mul_f16_sdwa v78, v29, v80 dst_sel:DWORD dst_unused:UNUSED_PAD src0_sel:DWORD src1_sel:WORD_1
	v_fma_f16 v21, v21, v79, -v34
	v_fmac_f16_e32 v77, v95, v79
	v_add_f16_e32 v34, v49, v50
	v_fma_f16 v79, v29, v80, -v35
	v_add_f16_e32 v29, v102, v104
	v_add_f16_e32 v35, v20, v49
	s_waitcnt lgkmcnt(0)
	v_add_f16_e32 v36, v88, v102
	v_fmac_f16_e32 v20, -0.5, v34
	v_sub_f16_e32 v34, v102, v104
	v_fmac_f16_e32 v88, -0.5, v29
	v_sub_f16_e32 v29, v49, v50
	v_add_f16_e32 v44, v1, v81
	v_add_f16_e32 v95, v36, v104
	v_fmamk_f16 v43, v34, 0x3aee, v20
	v_fmac_f16_e32 v20, 0xbaee, v34
	v_add_f16_e32 v34, v5, v40
	v_fmamk_f16 v96, v29, 0xbaee, v88
	v_fmac_f16_e32 v88, 0x3aee, v29
	v_add_f16_e32 v29, v37, v6
	v_add_f16_e32 v36, v19, v1
	v_fmac_f16_e32 v19, -0.5, v44
	v_sub_f16_e32 v44, v82, v8
	v_add_f16_e32 v45, v18, v5
	v_fmac_f16_e32 v18, -0.5, v34
	v_sub_f16_e32 v34, v2, v0
	;; [unrolled: 3-line block ×3, first 2 shown]
	v_add_f16_e32 v35, v35, v50
	v_fmamk_f16 v46, v44, 0x3aee, v19
	v_fmac_f16_e32 v19, 0xbaee, v44
	v_fmamk_f16 v44, v34, 0x3aee, v18
	v_add_f16_e32 v47, v3, v4
	v_fmac_f16_e32 v18, 0xbaee, v34
	v_fmamk_f16 v34, v29, 0x3aee, v17
	v_add_f16_e32 v50, v86, v71
	v_fmac_f16_e32 v17, 0xbaee, v29
	v_add_f16_e32 v29, v41, v42
	v_add_f16_e32 v49, v16, v3
	v_fmac_f16_e32 v16, -0.5, v47
	v_sub_f16_e32 v47, v106, v108
	v_add_f16_e32 v98, v15, v86
	v_fmac_f16_e32 v15, -0.5, v50
	v_sub_f16_e32 v50, v7, v85
	;; [unrolled: 3-line block ×3, first 2 shown]
	v_fmac_f16_e32 v78, v100, v80
	v_fmamk_f16 v97, v47, 0x3aee, v16
	v_fmac_f16_e32 v16, 0xbaee, v47
	v_fmamk_f16 v47, v50, 0x3aee, v15
	v_fmac_f16_e32 v15, 0xbaee, v50
	v_add_f16_e32 v50, v74, v39
	v_fmamk_f16 v100, v29, 0x3aee, v14
	v_fmac_f16_e32 v14, 0xbaee, v29
	v_add_f16_e32 v29, v23, v38
	v_add_f16_e32 v102, v21, v79
	;; [unrolled: 1-line block ×3, first 2 shown]
	v_fmac_f16_e32 v11, -0.5, v50
	v_sub_f16_e32 v50, v73, v75
	v_add_f16_e32 v103, v12, v23
	v_fmac_f16_e32 v12, -0.5, v29
	v_sub_f16_e32 v29, v87, v76
	v_add_f16_e32 v104, v13, v21
	v_fmac_f16_e32 v13, -0.5, v102
	v_sub_f16_e32 v102, v77, v78
	v_fmamk_f16 v105, v50, 0x3aee, v11
	v_fmac_f16_e32 v11, 0xbaee, v50
	v_fmamk_f16 v50, v29, 0x3aee, v12
	v_fmac_f16_e32 v12, 0xbaee, v29
	;; [unrolled: 2-line block ×3, first 2 shown]
	v_mov_b32_e32 v29, 1
	v_mov_b32_e32 v102, 18
	ds_read_u16 v80, v27 offset:216
	ds_read_u16 v89, v27 offset:432
	;; [unrolled: 1-line block ×8, first 2 shown]
	s_waitcnt lgkmcnt(0)
	v_lshlrev_b32_sdwa v53, v29, v53 dst_sel:DWORD dst_unused:UNUSED_PAD src0_sel:DWORD src1_sel:BYTE_0
	v_mul_u32_u24_sdwa v22, v22, v102 dst_sel:DWORD dst_unused:UNUSED_PAD src0_sel:WORD_0 src1_sel:DWORD
	s_barrier
	buffer_gl0_inv
	v_sub_f16_e32 v1, v1, v81
	v_add3_u32 v22, 0, v22, v53
	v_mul_u32_u24_sdwa v53, v61, v102 dst_sel:DWORD dst_unused:UNUSED_PAD src0_sel:WORD_0 src1_sel:DWORD
	v_lshlrev_b32_sdwa v61, v29, v62 dst_sel:DWORD dst_unused:UNUSED_PAD src0_sel:DWORD src1_sel:BYTE_0
	ds_write_b16 v22, v35
	ds_write_b16 v22, v43 offset:6
	v_add_f16_e32 v35, v36, v81
	v_add3_u32 v102, 0, v53, v61
	v_lshlrev_b32_sdwa v36, v29, v58 dst_sel:DWORD dst_unused:UNUSED_PAD src0_sel:DWORD src1_sel:WORD_0
	v_mul_u32_u24_e32 v43, 18, v54
	ds_write_b16 v22, v20 offset:12
	v_lshlrev_b32_sdwa v20, v29, v59 dst_sel:DWORD dst_unused:UNUSED_PAD src0_sel:DWORD src1_sel:WORD_0
	v_mul_u32_u24_e32 v53, 18, v56
	ds_write_b16 v102, v35
	v_add3_u32 v110, 0, v43, v36
	v_add_f16_e32 v35, v45, v40
	v_add_f16_e32 v36, v48, v6
	v_add3_u32 v20, 0, v53, v20
	ds_write_b16 v102, v46 offset:6
	ds_write_b16 v102, v19 offset:12
	ds_write_b16 v110, v35
	ds_write_b16 v110, v44 offset:6
	ds_write_b16 v110, v18 offset:12
	ds_write_b16 v20, v36
	v_lshlrev_b32_sdwa v18, v29, v52 dst_sel:DWORD dst_unused:UNUSED_PAD src0_sel:DWORD src1_sel:WORD_0
	v_mul_u32_u24_e32 v19, 18, v51
	v_lshlrev_b32_sdwa v35, v29, v60 dst_sel:DWORD dst_unused:UNUSED_PAD src0_sel:DWORD src1_sel:WORD_0
	v_mul_u32_u24_e32 v36, 18, v57
	ds_write_b16 v20, v34 offset:6
	ds_write_b16 v20, v17 offset:12
	v_add_f16_e32 v34, v98, v71
	v_add3_u32 v17, 0, v19, v18
	v_add_f16_e32 v18, v49, v4
	v_add3_u32 v19, 0, v36, v35
	v_lshlrev_b32_sdwa v35, v29, v65 dst_sel:DWORD dst_unused:UNUSED_PAD src0_sel:DWORD src1_sel:WORD_0
	v_mul_u32_u24_e32 v36, 18, v55
	ds_write_b16 v17, v18
	ds_write_b16 v17, v97 offset:6
	ds_write_b16 v17, v16 offset:12
	ds_write_b16 v19, v34
	v_lshlrev_b32_sdwa v34, v29, v66 dst_sel:DWORD dst_unused:UNUSED_PAD src0_sel:DWORD src1_sel:WORD_0
	v_add_f16_e32 v18, v99, v42
	v_add3_u32 v16, 0, v36, v35
	v_mul_u32_u24_e32 v35, 18, v63
	ds_write_b16 v19, v47 offset:6
	ds_write_b16 v19, v15 offset:12
	ds_write_b16 v16, v18
	ds_write_b16 v16, v100 offset:6
	v_add_f16_e32 v18, v101, v39
	ds_write_b16 v16, v14 offset:12
	v_add3_u32 v15, 0, v35, v34
	v_lshlrev_b32_sdwa v34, v29, v68 dst_sel:DWORD dst_unused:UNUSED_PAD src0_sel:DWORD src1_sel:WORD_0
	v_mul_u32_u24_e32 v35, 18, v64
	v_lshlrev_b32_sdwa v14, v29, v69 dst_sel:DWORD dst_unused:UNUSED_PAD src0_sel:DWORD src1_sel:WORD_0
	v_mul_u32_u24_e32 v36, 18, v67
	ds_write_b16 v15, v18
	ds_write_b16 v15, v105 offset:6
	v_add3_u32 v18, 0, v35, v34
	v_add_f16_e32 v34, v103, v38
	v_add3_u32 v14, 0, v36, v14
	v_add_f16_e32 v35, v104, v79
	ds_write_b16 v15, v11 offset:12
	ds_write_b16 v18, v34
	ds_write_b16 v18, v50 offset:6
	ds_write_b16 v18, v12 offset:12
	ds_write_b16 v14, v35
	ds_write_b16 v14, v107 offset:6
	ds_write_b16 v14, v13 offset:12
	v_add_f16_e32 v11, v82, v8
	v_add_f16_e32 v12, v80, v82
	s_waitcnt lgkmcnt(0)
	s_barrier
	buffer_gl0_inv
	v_fmac_f16_e32 v80, -0.5, v11
	v_add_f16_e32 v8, v12, v8
	v_add_f16_e32 v11, v2, v0
	ds_read_u16 v36, v27
	ds_read_u16 v35, v27 offset:216
	ds_read_u16 v53, v27 offset:3456
	;; [unrolled: 1-line block ×29, first 2 shown]
	s_waitcnt lgkmcnt(0)
	v_fmamk_f16 v12, v1, 0xbaee, v80
	v_fmac_f16_e32 v80, 0x3aee, v1
	v_add_f16_e32 v1, v89, v2
	v_fmac_f16_e32 v89, -0.5, v11
	v_sub_f16_e32 v2, v5, v40
	s_barrier
	buffer_gl0_inv
	v_add_f16_e32 v0, v1, v0
	v_add_f16_e32 v1, v83, v9
	ds_write_b16 v22, v95
	ds_write_b16 v22, v96 offset:6
	ds_write_b16 v22, v88 offset:12
	ds_write_b16 v102, v8
	ds_write_b16 v102, v12 offset:6
	ds_write_b16 v102, v80 offset:12
	v_fmamk_f16 v5, v2, 0xbaee, v89
	ds_write_b16 v110, v0
	v_add_f16_e32 v0, v90, v83
	v_fmac_f16_e32 v90, -0.5, v1
	v_sub_f16_e32 v1, v37, v6
	v_fmac_f16_e32 v89, 0x3aee, v2
	ds_write_b16 v110, v5 offset:6
	ds_write_b16 v110, v89 offset:12
	v_add_f16_e32 v0, v0, v9
	v_add_f16_e32 v2, v106, v108
	v_fmamk_f16 v5, v1, 0xbaee, v90
	v_fmac_f16_e32 v90, 0x3aee, v1
	v_add_f16_e32 v1, v91, v106
	ds_write_b16 v20, v0
	v_fmac_f16_e32 v91, -0.5, v2
	v_sub_f16_e32 v0, v3, v4
	v_add_f16_e32 v2, v7, v85
	v_add_f16_e32 v1, v1, v108
	ds_write_b16 v20, v5 offset:6
	ds_write_b16 v20, v90 offset:12
	v_fmamk_f16 v3, v0, 0xbaee, v91
	v_fmac_f16_e32 v91, 0x3aee, v0
	ds_write_b16 v17, v1
	v_add_f16_e32 v0, v92, v7
	v_fmac_f16_e32 v92, -0.5, v2
	v_sub_f16_e32 v1, v86, v71
	v_add_f16_e32 v2, v72, v84
	ds_write_b16 v17, v3 offset:6
	ds_write_b16 v17, v91 offset:12
	v_add_f16_e32 v0, v0, v85
	v_add_f16_e32 v4, v93, v72
	v_fmamk_f16 v3, v1, 0xbaee, v92
	v_fmac_f16_e32 v92, 0x3aee, v1
	v_add_f16_e32 v1, v73, v75
	v_fmac_f16_e32 v93, -0.5, v2
	v_sub_f16_e32 v2, v41, v42
	v_add_f16_e32 v5, v94, v73
	v_lshrrev_b16 v37, 9, v10
	v_fmac_f16_e32 v94, -0.5, v1
	v_sub_f16_e32 v1, v74, v39
	v_fmamk_f16 v6, v2, 0xbaee, v93
	v_fmac_f16_e32 v93, 0x3aee, v2
	v_add_f16_e32 v2, v5, v75
	v_add_f16_e32 v5, v87, v76
	ds_write_b16 v19, v0
	ds_write_b16 v19, v3 offset:6
	v_mul_lo_u16 v0, v37, 9
	v_fmamk_f16 v7, v1, 0xbaee, v94
	v_fmac_f16_e32 v94, 0x3aee, v1
	v_add_f16_e32 v1, v77, v78
	v_add_f16_e32 v8, v109, v87
	v_fmac_f16_e32 v109, -0.5, v5
	v_sub_f16_e32 v5, v23, v38
	v_sub_nc_u16 v38, v26, v0
	v_mov_b32_e32 v10, 9
	v_add_f16_e32 v4, v4, v84
	v_add_f16_e32 v9, v70, v77
	v_fmac_f16_e32 v70, -0.5, v1
	v_sub_f16_e32 v1, v21, v79
	v_mul_u32_u24_sdwa v0, v38, v10 dst_sel:DWORD dst_unused:UNUSED_PAD src0_sel:BYTE_0 src1_sel:DWORD
	ds_write_b16 v19, v92 offset:12
	ds_write_b16 v16, v4
	ds_write_b16 v16, v6 offset:6
	ds_write_b16 v16, v93 offset:12
	v_mul_lo_u16 v4, v33, 57
	v_fmamk_f16 v11, v5, 0xbaee, v109
	v_fmac_f16_e32 v109, 0x3aee, v5
	v_add_f16_e32 v5, v9, v78
	v_fmamk_f16 v9, v1, 0xbaee, v70
	v_fmac_f16_e32 v70, 0x3aee, v1
	v_lshlrev_b32_e32 v71, 2, v0
	v_add_f16_e32 v8, v8, v76
	v_lshrrev_b16 v39, 9, v4
	ds_write_b16 v15, v2
	ds_write_b16 v15, v7 offset:6
	ds_write_b16 v15, v94 offset:12
	ds_write_b16 v18, v8
	ds_write_b16 v18, v11 offset:6
	ds_write_b16 v18, v109 offset:12
	;; [unrolled: 3-line block ×3, first 2 shown]
	s_waitcnt lgkmcnt(0)
	s_barrier
	buffer_gl0_inv
	s_clause 0x1
	global_load_dwordx4 v[0:3], v71, s[8:9] offset:24
	global_load_dwordx4 v[4:7], v71, s[8:9] offset:40
	v_mul_lo_u16 v8, v39, 9
	v_lshlrev_b32_sdwa v38, v29, v38 dst_sel:DWORD dst_unused:UNUSED_PAD src0_sel:DWORD src1_sel:BYTE_0
	v_sub_nc_u16 v40, v32, v8
	v_mul_u32_u24_sdwa v8, v40, v10 dst_sel:DWORD dst_unused:UNUSED_PAD src0_sel:BYTE_0 src1_sel:DWORD
	v_lshlrev_b32_sdwa v40, v29, v40 dst_sel:DWORD dst_unused:UNUSED_PAD src0_sel:DWORD src1_sel:BYTE_0
	v_lshlrev_b32_e32 v70, 2, v8
	v_mov_b32_e32 v8, 0xe38f
	s_clause 0x1
	global_load_dwordx4 v[20:23], v70, s[8:9] offset:24
	global_load_dwordx4 v[16:19], v70, s[8:9] offset:40
	v_mul_u32_u24_sdwa v8, v31, v8 dst_sel:DWORD dst_unused:UNUSED_PAD src0_sel:WORD_0 src1_sel:DWORD
	v_lshrrev_b32_e32 v41, 19, v8
	v_mul_lo_u16 v8, v41, 9
	v_sub_nc_u16 v42, v31, v8
	v_mul_u32_u24_sdwa v8, v42, v10 dst_sel:DWORD dst_unused:UNUSED_PAD src0_sel:WORD_0 src1_sel:DWORD
	v_lshlrev_b32_e32 v72, 2, v8
	s_clause 0x4
	global_load_dwordx4 v[8:11], v72, s[8:9] offset:24
	global_load_dwordx4 v[12:15], v72, s[8:9] offset:40
	global_load_dword v71, v71, s[8:9] offset:56
	global_load_dword v70, v70, s[8:9] offset:56
	global_load_dword v72, v72, s[8:9] offset:56
	ds_read_u16 v79, v27 offset:648
	ds_read_u16 v78, v27 offset:1296
	;; [unrolled: 1-line block ×10, first 2 shown]
	s_waitcnt vmcnt(8) lgkmcnt(9)
	v_mul_f16_sdwa v81, v79, v0 dst_sel:DWORD dst_unused:UNUSED_PAD src0_sel:DWORD src1_sel:WORD_1
	v_mul_f16_sdwa v82, v69, v0 dst_sel:DWORD dst_unused:UNUSED_PAD src0_sel:DWORD src1_sel:WORD_1
	;; [unrolled: 1-line block ×3, first 2 shown]
	s_waitcnt lgkmcnt(7)
	v_mul_f16_sdwa v89, v77, v2 dst_sel:DWORD dst_unused:UNUSED_PAD src0_sel:DWORD src1_sel:WORD_1
	v_mul_f16_sdwa v90, v66, v3 dst_sel:DWORD dst_unused:UNUSED_PAD src0_sel:DWORD src1_sel:WORD_1
	v_fma_f16 v69, v69, v0, -v81
	v_mul_f16_sdwa v81, v78, v1 dst_sel:DWORD dst_unused:UNUSED_PAD src0_sel:DWORD src1_sel:WORD_1
	v_fmac_f16_e32 v82, v79, v0
	ds_read_u16 v0, v27 offset:4536
	v_fmac_f16_e32 v85, v78, v1
	v_mul_f16_sdwa v78, v68, v2 dst_sel:DWORD dst_unused:UNUSED_PAD src0_sel:DWORD src1_sel:WORD_1
	v_fma_f16 v79, v67, v1, -v81
	ds_read_u16 v67, v27 offset:2160
	ds_read_u16 v81, v27 offset:2808
	;; [unrolled: 1-line block ×6, first 2 shown]
	s_waitcnt lgkmcnt(13)
	v_mul_f16_sdwa v1, v76, v3 dst_sel:DWORD dst_unused:UNUSED_PAD src0_sel:DWORD src1_sel:WORD_1
	v_fmac_f16_e32 v78, v77, v2
	s_waitcnt vmcnt(7)
	v_mul_f16_sdwa v96, v65, v5 dst_sel:DWORD dst_unused:UNUSED_PAD src0_sel:DWORD src1_sel:WORD_1
	v_fma_f16 v68, v68, v2, -v89
	v_fmac_f16_e32 v90, v76, v3
	v_fma_f16 v77, v66, v3, -v1
	s_waitcnt lgkmcnt(8)
	v_mul_f16_sdwa v1, v83, v4 dst_sel:DWORD dst_unused:UNUSED_PAD src0_sel:DWORD src1_sel:WORD_1
	v_mul_f16_sdwa v76, v63, v4 dst_sel:DWORD dst_unused:UNUSED_PAD src0_sel:DWORD src1_sel:WORD_1
	ds_read_u16 v2, v27 offset:4104
	ds_read_u16 v89, v27 offset:3456
	ds_read_u16 v92, v27 offset:4752
	ds_read_u16 v93, v27 offset:4968
	ds_read_u16 v94, v27 offset:4320
	ds_read_u16 v95, v27 offset:3672
	s_waitcnt lgkmcnt(13)
	v_mul_f16_sdwa v3, v84, v5 dst_sel:DWORD dst_unused:UNUSED_PAD src0_sel:DWORD src1_sel:WORD_1
	v_fmac_f16_e32 v96, v84, v5
	v_fma_f16 v97, v63, v4, -v1
	v_mul_f16_sdwa v84, v64, v6 dst_sel:DWORD dst_unused:UNUSED_PAD src0_sel:DWORD src1_sel:WORD_1
	v_fmac_f16_e32 v76, v83, v4
	s_waitcnt lgkmcnt(12)
	v_mul_f16_sdwa v1, v0, v6 dst_sel:DWORD dst_unused:UNUSED_PAD src0_sel:DWORD src1_sel:WORD_1
	ds_read_u16 v4, v27 offset:5400
	ds_read_u16 v98, v27 offset:5616
	;; [unrolled: 1-line block ×5, first 2 shown]
	v_fma_f16 v83, v65, v5, -v3
	v_fmac_f16_e32 v84, v0, v6
	s_waitcnt vmcnt(6)
	v_mul_f16_sdwa v0, v75, v20 dst_sel:DWORD dst_unused:UNUSED_PAD src0_sel:DWORD src1_sel:WORD_1
	s_waitcnt lgkmcnt(11)
	v_mul_f16_sdwa v3, v91, v7 dst_sel:DWORD dst_unused:UNUSED_PAD src0_sel:DWORD src1_sel:WORD_1
	v_fma_f16 v102, v64, v6, -v1
	v_mul_f16_sdwa v1, v74, v21 dst_sel:DWORD dst_unused:UNUSED_PAD src0_sel:DWORD src1_sel:WORD_1
	v_mul_f16_sdwa v103, v59, v7 dst_sel:DWORD dst_unused:UNUSED_PAD src0_sel:DWORD src1_sel:WORD_1
	;; [unrolled: 1-line block ×3, first 2 shown]
	v_fma_f16 v59, v59, v7, -v3
	v_fma_f16 v3, v60, v20, -v0
	v_mul_f16_sdwa v0, v67, v22 dst_sel:DWORD dst_unused:UNUSED_PAD src0_sel:DWORD src1_sel:WORD_1
	v_fma_f16 v66, v56, v21, -v1
	v_mul_f16_sdwa v1, v81, v23 dst_sel:DWORD dst_unused:UNUSED_PAD src0_sel:DWORD src1_sel:WORD_1
	v_mul_f16_sdwa v6, v60, v20 dst_sel:DWORD dst_unused:UNUSED_PAD src0_sel:DWORD src1_sel:WORD_1
	;; [unrolled: 1-line block ×3, first 2 shown]
	v_fmac_f16_e32 v63, v74, v21
	v_fma_f16 v21, v62, v22, -v0
	s_waitcnt vmcnt(5) lgkmcnt(9)
	v_mul_f16_sdwa v0, v89, v16 dst_sel:DWORD dst_unused:UNUSED_PAD src0_sel:DWORD src1_sel:WORD_1
	v_fma_f16 v65, v58, v23, -v1
	v_mul_f16_sdwa v1, v2, v17 dst_sel:DWORD dst_unused:UNUSED_PAD src0_sel:DWORD src1_sel:WORD_1
	v_fmac_f16_e32 v6, v75, v20
	v_mul_f16_sdwa v62, v58, v23 dst_sel:DWORD dst_unused:UNUSED_PAD src0_sel:DWORD src1_sel:WORD_1
	v_fmac_f16_e32 v56, v67, v22
	v_mul_f16_sdwa v20, v53, v16 dst_sel:DWORD dst_unused:UNUSED_PAD src0_sel:DWORD src1_sel:WORD_1
	v_fma_f16 v22, v53, v16, -v0
	v_mul_f16_sdwa v64, v61, v17 dst_sel:DWORD dst_unused:UNUSED_PAD src0_sel:DWORD src1_sel:WORD_1
	s_waitcnt lgkmcnt(8)
	v_mul_f16_sdwa v0, v92, v18 dst_sel:DWORD dst_unused:UNUSED_PAD src0_sel:DWORD src1_sel:WORD_1
	v_fma_f16 v67, v61, v17, -v1
	v_mul_f16_sdwa v53, v57, v18 dst_sel:DWORD dst_unused:UNUSED_PAD src0_sel:DWORD src1_sel:WORD_1
	s_waitcnt lgkmcnt(4)
	v_mul_f16_sdwa v1, v4, v19 dst_sel:DWORD dst_unused:UNUSED_PAD src0_sel:DWORD src1_sel:WORD_1
	v_fmac_f16_e32 v62, v81, v23
	v_fmac_f16_e32 v64, v2, v17
	v_fma_f16 v23, v57, v18, -v0
	v_mul_f16_sdwa v17, v49, v19 dst_sel:DWORD dst_unused:UNUSED_PAD src0_sel:DWORD src1_sel:WORD_1
	s_waitcnt vmcnt(4)
	v_mul_f16_sdwa v0, v73, v8 dst_sel:DWORD dst_unused:UNUSED_PAD src0_sel:DWORD src1_sel:WORD_1
	v_fmac_f16_e32 v53, v92, v18
	v_fma_f16 v18, v49, v19, -v1
	v_mul_f16_sdwa v1, v50, v8 dst_sel:DWORD dst_unused:UNUSED_PAD src0_sel:DWORD src1_sel:WORD_1
	v_fmac_f16_e32 v17, v4, v19
	v_fma_f16 v0, v50, v8, -v0
	v_mul_f16_sdwa v4, v88, v9 dst_sel:DWORD dst_unused:UNUSED_PAD src0_sel:DWORD src1_sel:WORD_1
	v_mul_f16_sdwa v2, v54, v9 dst_sel:DWORD dst_unused:UNUSED_PAD src0_sel:DWORD src1_sel:WORD_1
	v_fmac_f16_e32 v1, v73, v8
	v_mul_f16_sdwa v5, v87, v10 dst_sel:DWORD dst_unused:UNUSED_PAD src0_sel:DWORD src1_sel:WORD_1
	v_mul_f16_sdwa v19, v51, v10 dst_sel:DWORD dst_unused:UNUSED_PAD src0_sel:DWORD src1_sel:WORD_1
	;; [unrolled: 1-line block ×3, first 2 shown]
	v_fmac_f16_e32 v103, v91, v7
	v_fmac_f16_e32 v20, v89, v16
	v_fma_f16 v16, v54, v9, -v4
	v_fmac_f16_e32 v2, v88, v9
	v_fma_f16 v49, v51, v10, -v5
	v_mul_f16_sdwa v7, v46, v11 dst_sel:DWORD dst_unused:UNUSED_PAD src0_sel:DWORD src1_sel:WORD_1
	s_waitcnt vmcnt(3)
	v_mul_f16_sdwa v5, v95, v12 dst_sel:DWORD dst_unused:UNUSED_PAD src0_sel:DWORD src1_sel:WORD_1
	v_mul_f16_sdwa v4, v55, v12 dst_sel:DWORD dst_unused:UNUSED_PAD src0_sel:DWORD src1_sel:WORD_1
	v_fmac_f16_e32 v19, v87, v10
	v_fma_f16 v10, v46, v11, -v8
	v_mul_f16_sdwa v8, v94, v13 dst_sel:DWORD dst_unused:UNUSED_PAD src0_sel:DWORD src1_sel:WORD_1
	v_mul_f16_sdwa v9, v48, v13 dst_sel:DWORD dst_unused:UNUSED_PAD src0_sel:DWORD src1_sel:WORD_1
	s_waitcnt lgkmcnt(3)
	v_mul_f16_sdwa v50, v98, v15 dst_sel:DWORD dst_unused:UNUSED_PAD src0_sel:DWORD src1_sel:WORD_1
	v_fmac_f16_e32 v7, v86, v11
	v_fma_f16 v46, v55, v12, -v5
	v_fmac_f16_e32 v4, v95, v12
	v_mul_f16_sdwa v11, v93, v14 dst_sel:DWORD dst_unused:UNUSED_PAD src0_sel:DWORD src1_sel:WORD_1
	v_mul_f16_sdwa v5, v45, v14 dst_sel:DWORD dst_unused:UNUSED_PAD src0_sel:DWORD src1_sel:WORD_1
	v_fma_f16 v12, v48, v13, -v8
	v_fmac_f16_e32 v9, v94, v13
	v_fma_f16 v13, v52, v15, -v50
	s_waitcnt vmcnt(1) lgkmcnt(1)
	v_mul_f16_sdwa v50, v100, v70 dst_sel:DWORD dst_unused:UNUSED_PAD src0_sel:DWORD src1_sel:WORD_1
	v_fma_f16 v45, v45, v14, -v11
	v_fmac_f16_e32 v5, v93, v14
	v_mul_f16_sdwa v11, v52, v15 dst_sel:DWORD dst_unused:UNUSED_PAD src0_sel:DWORD src1_sel:WORD_1
	s_waitcnt lgkmcnt(0)
	v_mul_f16_sdwa v8, v101, v71 dst_sel:DWORD dst_unused:UNUSED_PAD src0_sel:DWORD src1_sel:WORD_1
	v_mul_f16_sdwa v14, v44, v70 dst_sel:DWORD dst_unused:UNUSED_PAD src0_sel:DWORD src1_sel:WORD_1
	v_fma_f16 v44, v44, v70, -v50
	s_waitcnt vmcnt(0)
	v_mul_f16_sdwa v50, v99, v72 dst_sel:DWORD dst_unused:UNUSED_PAD src0_sel:DWORD src1_sel:WORD_1
	v_sub_f16_e32 v51, v79, v77
	v_sub_f16_e32 v52, v59, v83
	v_mul_f16_sdwa v48, v47, v71 dst_sel:DWORD dst_unused:UNUSED_PAD src0_sel:DWORD src1_sel:WORD_1
	v_fmac_f16_e32 v11, v98, v15
	v_fma_f16 v47, v47, v71, -v8
	v_add_f16_e32 v15, v77, v83
	v_mul_f16_sdwa v8, v43, v72 dst_sel:DWORD dst_unused:UNUSED_PAD src0_sel:DWORD src1_sel:WORD_1
	v_fma_f16 v43, v43, v72, -v50
	v_add_f16_e32 v50, v51, v52
	v_add_f16_e32 v51, v79, v59
	ds_read_u16 v57, v27
	v_fma_f16 v54, -0.5, v15, v36
	v_sub_f16_e32 v15, v85, v103
	v_sub_f16_e32 v55, v90, v96
	v_add_f16_e32 v58, v36, v79
	v_fmac_f16_e32 v36, -0.5, v51
	v_sub_f16_e32 v51, v77, v79
	v_fmamk_f16 v52, v15, 0x3b9c, v54
	v_fmac_f16_e32 v54, 0xbb9c, v15
	v_add_f16_e32 v58, v58, v77
	v_fmamk_f16 v61, v55, 0xbb9c, v36
	v_fmac_f16_e32 v36, 0x3b9c, v55
	v_fmac_f16_e32 v52, 0x38b4, v55
	v_sub_f16_e32 v60, v83, v59
	v_fmac_f16_e32 v54, 0xb8b4, v55
	v_fmac_f16_e32 v61, 0x38b4, v15
	;; [unrolled: 1-line block ×3, first 2 shown]
	v_add_f16_e32 v15, v58, v83
	v_add_f16_e32 v55, v90, v96
	v_fmac_f16_e32 v48, v101, v71
	v_add_f16_e32 v51, v51, v60
	v_fmac_f16_e32 v52, 0x34f2, v50
	v_fmac_f16_e32 v54, 0x34f2, v50
	v_add_f16_e32 v50, v15, v59
	ds_read_u16 v15, v27 offset:216
	v_sub_f16_e32 v58, v79, v59
	v_sub_f16_e32 v59, v85, v90
	;; [unrolled: 1-line block ×3, first 2 shown]
	s_waitcnt lgkmcnt(1)
	v_fma_f16 v55, -0.5, v55, v57
	v_add_f16_e32 v71, v85, v103
	v_fmac_f16_e32 v14, v100, v70
	v_fmac_f16_e32 v61, 0x34f2, v51
	;; [unrolled: 1-line block ×3, first 2 shown]
	v_add_f16_e32 v51, v57, v85
	v_sub_f16_e32 v70, v77, v83
	v_add_f16_e32 v59, v59, v60
	v_fmamk_f16 v60, v58, 0xbb9c, v55
	v_fmac_f16_e32 v55, 0x3b9c, v58
	v_fmac_f16_e32 v57, -0.5, v71
	v_fmac_f16_e32 v8, v99, v72
	v_sub_f16_e32 v71, v90, v85
	v_fmac_f16_e32 v60, 0xb8b4, v70
	v_fmac_f16_e32 v55, 0x38b4, v70
	v_sub_f16_e32 v72, v96, v103
	v_fmamk_f16 v73, v70, 0x3b9c, v57
	v_fmac_f16_e32 v57, 0xbb9c, v70
	v_fmac_f16_e32 v60, 0x34f2, v59
	v_fmac_f16_e32 v55, 0x34f2, v59
	v_add_f16_e32 v59, v97, v102
	v_add_f16_e32 v70, v71, v72
	v_fmac_f16_e32 v73, 0xb8b4, v58
	v_sub_f16_e32 v71, v68, v97
	v_sub_f16_e32 v72, v47, v102
	v_fmac_f16_e32 v57, 0x38b4, v58
	v_add_f16_e32 v58, v68, v47
	v_fma_f16 v59, -0.5, v59, v69
	v_sub_f16_e32 v74, v78, v48
	v_add_f16_e32 v71, v71, v72
	v_add_f16_e32 v72, v69, v68
	v_sub_f16_e32 v77, v76, v84
	v_fmac_f16_e32 v69, -0.5, v58
	v_fmamk_f16 v75, v74, 0x3b9c, v59
	v_fmac_f16_e32 v59, 0xbb9c, v74
	v_sub_f16_e32 v58, v97, v68
	v_sub_f16_e32 v79, v102, v47
	v_fmamk_f16 v81, v77, 0xbb9c, v69
	v_fmac_f16_e32 v69, 0x3b9c, v77
	v_add_f16_e32 v72, v72, v97
	v_fmac_f16_e32 v75, 0x38b4, v77
	v_fmac_f16_e32 v59, 0xb8b4, v77
	v_add_f16_e32 v58, v58, v79
	v_fmac_f16_e32 v81, 0x38b4, v74
	v_fmac_f16_e32 v69, 0xb8b4, v74
	v_fmac_f16_e32 v73, 0x34f2, v70
	v_fmac_f16_e32 v57, 0x34f2, v70
	v_add_f16_e32 v70, v72, v102
	v_fmac_f16_e32 v75, 0x34f2, v71
	v_fmac_f16_e32 v59, 0x34f2, v71
	;; [unrolled: 1-line block ×4, first 2 shown]
	v_add_f16_e32 v58, v70, v47
	v_sub_f16_e32 v47, v68, v47
	v_add_f16_e32 v68, v76, v84
	v_add_f16_e32 v71, v78, v48
	v_sub_f16_e32 v70, v97, v102
	v_add_f16_e32 v72, v82, v78
	v_sub_f16_e32 v74, v78, v76
	v_fma_f16 v68, -0.5, v68, v82
	v_fmac_f16_e32 v82, -0.5, v71
	v_sub_f16_e32 v77, v48, v84
	v_add_f16_e32 v71, v72, v76
	v_sub_f16_e32 v72, v76, v78
	v_fmamk_f16 v76, v47, 0xbb9c, v68
	v_sub_f16_e32 v78, v84, v48
	v_fmamk_f16 v79, v70, 0x3b9c, v82
	v_add_f16_e32 v74, v74, v77
	v_fmac_f16_e32 v68, 0x3b9c, v47
	v_fmac_f16_e32 v76, 0xb8b4, v70
	v_add_f16_e32 v72, v72, v78
	v_fmac_f16_e32 v79, 0xb8b4, v47
	v_fmac_f16_e32 v82, 0xbb9c, v70
	v_add_f16_e32 v51, v51, v90
	v_add_f16_e32 v71, v71, v84
	v_fmac_f16_e32 v76, 0x34f2, v74
	v_fmac_f16_e32 v79, 0x34f2, v72
	;; [unrolled: 1-line block ×4, first 2 shown]
	v_mul_f16_e32 v70, 0xb8b4, v75
	v_add_f16_e32 v51, v51, v96
	v_add_f16_e32 v48, v71, v48
	v_mul_f16_e32 v47, 0x38b4, v76
	v_mul_f16_e32 v71, 0x3b9c, v79
	v_fmac_f16_e32 v68, 0x34f2, v74
	v_fmac_f16_e32 v82, 0x34f2, v72
	;; [unrolled: 1-line block ×3, first 2 shown]
	v_mul_f16_e32 v74, 0x34f2, v69
	v_mul_f16_e32 v76, 0x3a79, v59
	v_add_f16_e32 v51, v51, v103
	v_fmac_f16_e32 v47, 0x3a79, v75
	v_fmac_f16_e32 v71, 0x34f2, v81
	v_mul_f16_e32 v72, 0xbb9c, v81
	v_mul_f16_e32 v75, 0x34f2, v82
	;; [unrolled: 1-line block ×3, first 2 shown]
	v_fma_f16 v74, v82, 0x3b9c, -v74
	v_fma_f16 v68, v68, 0x38b4, -v76
	v_fmac_f16_e32 v72, 0x34f2, v79
	v_fma_f16 v69, v69, 0xbb9c, -v75
	v_add_f16_e32 v75, v50, v58
	v_sub_f16_e32 v50, v50, v58
	v_add_f16_e32 v58, v52, v47
	v_sub_f16_e32 v47, v52, v47
	;; [unrolled: 2-line block ×6, first 2 shown]
	v_add_f16_e32 v48, v65, v67
	v_fma_f16 v59, v59, 0xb8b4, -v77
	v_add_f16_e32 v77, v60, v70
	v_sub_f16_e32 v70, v60, v70
	v_add_f16_e32 v78, v73, v72
	v_sub_f16_e32 v72, v73, v72
	v_add_f16_e32 v73, v57, v69
	v_sub_f16_e32 v51, v66, v65
	v_sub_f16_e32 v60, v18, v67
	v_sub_f16_e32 v69, v57, v69
	v_add_f16_e32 v57, v66, v18
	v_fma_f16 v48, -0.5, v48, v35
	v_sub_f16_e32 v79, v63, v17
	v_add_f16_e32 v51, v51, v60
	v_add_f16_e32 v60, v35, v66
	v_fmac_f16_e32 v35, -0.5, v57
	v_sub_f16_e32 v57, v62, v64
	v_fmamk_f16 v81, v79, 0x3b9c, v48
	v_fmac_f16_e32 v48, 0xbb9c, v79
	v_sub_f16_e32 v82, v65, v66
	v_sub_f16_e32 v83, v67, v18
	v_fmamk_f16 v84, v57, 0xbb9c, v35
	v_fmac_f16_e32 v35, 0x3b9c, v57
	v_fmac_f16_e32 v81, 0x38b4, v57
	;; [unrolled: 1-line block ×3, first 2 shown]
	v_add_f16_e32 v57, v82, v83
	v_fmac_f16_e32 v84, 0x38b4, v79
	v_fmac_f16_e32 v35, 0xb8b4, v79
	v_add_f16_e32 v79, v22, v23
	v_fmac_f16_e32 v81, 0x34f2, v51
	v_fmac_f16_e32 v48, 0x34f2, v51
	v_add_f16_e32 v51, v21, v44
	v_add_f16_e32 v82, v55, v59
	v_sub_f16_e32 v83, v55, v59
	v_fma_f16 v79, -0.5, v79, v3
	v_sub_f16_e32 v55, v56, v14
	v_sub_f16_e32 v59, v21, v22
	v_sub_f16_e32 v85, v44, v23
	v_add_f16_e32 v86, v3, v21
	v_fmac_f16_e32 v3, -0.5, v51
	v_sub_f16_e32 v51, v20, v53
	v_fmamk_f16 v87, v55, 0x3b9c, v79
	v_fmac_f16_e32 v79, 0xbb9c, v55
	v_fmac_f16_e32 v84, 0x34f2, v57
	;; [unrolled: 1-line block ×3, first 2 shown]
	v_add_f16_e32 v57, v59, v85
	v_fmamk_f16 v85, v51, 0xbb9c, v3
	v_add_f16_e32 v86, v86, v22
	v_fmac_f16_e32 v3, 0x3b9c, v51
	v_fmac_f16_e32 v87, 0x38b4, v51
	;; [unrolled: 1-line block ×3, first 2 shown]
	v_sub_f16_e32 v59, v22, v21
	v_sub_f16_e32 v88, v23, v44
	v_add_f16_e32 v51, v86, v23
	v_fmac_f16_e32 v85, 0x38b4, v55
	v_fmac_f16_e32 v3, 0xb8b4, v55
	v_add_f16_e32 v55, v20, v53
	v_sub_f16_e32 v22, v22, v23
	v_add_f16_e32 v23, v56, v14
	v_fmac_f16_e32 v87, 0x34f2, v57
	v_fmac_f16_e32 v79, 0x34f2, v57
	v_add_f16_e32 v57, v59, v88
	v_add_f16_e32 v51, v51, v44
	v_sub_f16_e32 v21, v21, v44
	v_fma_f16 v86, -0.5, v55, v6
	v_sub_f16_e32 v44, v56, v20
	v_sub_f16_e32 v55, v14, v53
	v_add_f16_e32 v88, v6, v56
	v_fmac_f16_e32 v6, -0.5, v23
	v_fmamk_f16 v89, v21, 0xbb9c, v86
	v_fmac_f16_e32 v86, 0x3b9c, v21
	v_add_f16_e32 v23, v44, v55
	v_sub_f16_e32 v44, v20, v56
	v_sub_f16_e32 v55, v53, v14
	v_fmamk_f16 v90, v22, 0x3b9c, v6
	v_fmac_f16_e32 v89, 0xb8b4, v22
	v_fmac_f16_e32 v6, 0xbb9c, v22
	;; [unrolled: 1-line block ×3, first 2 shown]
	v_add_f16_e32 v22, v44, v55
	v_fmac_f16_e32 v90, 0xb8b4, v21
	v_add_f16_e32 v44, v60, v65
	v_fmac_f16_e32 v6, 0x38b4, v21
	v_fmac_f16_e32 v89, 0x34f2, v23
	;; [unrolled: 1-line block ×5, first 2 shown]
	v_add_f16_e32 v21, v44, v67
	v_fmac_f16_e32 v86, 0x34f2, v23
	v_mul_f16_e32 v23, 0x38b4, v89
	v_mul_f16_e32 v44, 0x3b9c, v90
	v_fmac_f16_e32 v6, 0x34f2, v22
	v_mul_f16_e32 v22, 0x34f2, v3
	v_add_f16_e32 v21, v21, v18
	v_fmac_f16_e32 v23, 0x3a79, v87
	v_fmac_f16_e32 v44, 0x34f2, v85
	v_add_f16_e32 v56, v10, v12
	v_fma_f16 v22, v6, 0x3b9c, -v22
	v_add_f16_e32 v55, v21, v51
	v_sub_f16_e32 v21, v21, v51
	v_add_f16_e32 v51, v81, v23
	v_sub_f16_e32 v23, v81, v23
	;; [unrolled: 2-line block ×3, first 2 shown]
	v_add_f16_e32 v59, v35, v22
	v_fma_f16 v56, -0.5, v56, v34
	v_sub_f16_e32 v60, v2, v11
	v_sub_f16_e32 v81, v16, v10
	;; [unrolled: 1-line block ×4, first 2 shown]
	v_add_f16_e32 v35, v16, v13
	v_fmamk_f16 v91, v60, 0x3b9c, v56
	v_sub_f16_e32 v92, v7, v9
	v_add_f16_e32 v81, v81, v84
	v_add_f16_e32 v84, v34, v16
	v_fmac_f16_e32 v34, -0.5, v35
	v_fmac_f16_e32 v56, 0xbb9c, v60
	v_mul_f16_e32 v93, 0x3a79, v79
	v_fmac_f16_e32 v91, 0x38b4, v92
	v_sub_f16_e32 v35, v10, v16
	v_sub_f16_e32 v94, v12, v13
	v_fmac_f16_e32 v56, 0xb8b4, v92
	v_fmamk_f16 v95, v92, 0xbb9c, v34
	v_fmac_f16_e32 v34, 0x3b9c, v92
	v_fma_f16 v92, v86, 0x38b4, -v93
	v_add_f16_e32 v93, v46, v45
	v_add_f16_e32 v35, v35, v94
	v_fmac_f16_e32 v95, 0x38b4, v60
	v_fmac_f16_e32 v34, 0xb8b4, v60
	v_add_f16_e32 v60, v48, v92
	v_sub_f16_e32 v48, v48, v92
	v_fma_f16 v92, -0.5, v93, v0
	v_sub_f16_e32 v93, v19, v8
	v_sub_f16_e32 v94, v49, v46
	;; [unrolled: 1-line block ×3, first 2 shown]
	v_fmac_f16_e32 v91, 0x34f2, v81
	v_fmac_f16_e32 v56, 0x34f2, v81
	v_fmamk_f16 v81, v93, 0x3b9c, v92
	v_sub_f16_e32 v97, v4, v5
	v_add_f16_e32 v94, v94, v96
	v_add_f16_e32 v96, v49, v43
	v_fmac_f16_e32 v92, 0xbb9c, v93
	v_fmac_f16_e32 v95, 0x34f2, v35
	v_fmac_f16_e32 v81, 0x38b4, v97
	v_fmac_f16_e32 v34, 0x34f2, v35
	v_add_f16_e32 v35, v0, v49
	v_fmac_f16_e32 v0, -0.5, v96
	v_fmac_f16_e32 v92, 0xb8b4, v97
	v_sub_f16_e32 v96, v46, v49
	v_sub_f16_e32 v98, v45, v43
	v_fmac_f16_e32 v81, 0x34f2, v94
	v_add_f16_e32 v35, v35, v46
	v_fmac_f16_e32 v92, 0x34f2, v94
	v_fmamk_f16 v99, v97, 0xbb9c, v0
	v_add_f16_e32 v94, v96, v98
	v_add_f16_e32 v96, v4, v5
	v_fmac_f16_e32 v0, 0x3b9c, v97
	v_add_f16_e32 v35, v35, v45
	v_sub_f16_e32 v49, v49, v43
	v_fmac_f16_e32 v99, 0x38b4, v93
	v_fma_f16 v96, -0.5, v96, v1
	v_fmac_f16_e32 v0, 0xb8b4, v93
	v_sub_f16_e32 v93, v19, v4
	v_sub_f16_e32 v97, v8, v5
	v_add_f16_e32 v35, v35, v43
	v_sub_f16_e32 v43, v46, v45
	v_add_f16_e32 v45, v19, v8
	v_fmamk_f16 v98, v49, 0xbb9c, v96
	v_add_f16_e32 v46, v93, v97
	v_add_f16_e32 v93, v1, v19
	v_fmac_f16_e32 v96, 0x3b9c, v49
	v_fmac_f16_e32 v1, -0.5, v45
	v_fmac_f16_e32 v98, 0xb8b4, v43
	v_sub_f16_e32 v19, v4, v19
	v_sub_f16_e32 v45, v5, v8
	v_fmac_f16_e32 v96, 0x38b4, v43
	v_fmamk_f16 v97, v43, 0x3b9c, v1
	v_fmac_f16_e32 v1, 0xbb9c, v43
	v_add_f16_e32 v43, v84, v10
	v_fmac_f16_e32 v98, 0x34f2, v46
	v_mov_b32_e32 v84, 0xb4
	v_add_f16_e32 v19, v19, v45
	v_fmac_f16_e32 v97, 0xb8b4, v49
	v_add_f16_e32 v43, v43, v12
	v_mul_f16_e32 v45, 0x38b4, v98
	v_mul_u32_u24_sdwa v37, v37, v84 dst_sel:DWORD dst_unused:UNUSED_PAD src0_sel:WORD_0 src1_sel:DWORD
	v_fmac_f16_e32 v1, 0x38b4, v49
	v_fmac_f16_e32 v97, 0x34f2, v19
	;; [unrolled: 1-line block ×3, first 2 shown]
	v_add_f16_e32 v43, v43, v13
	v_fmac_f16_e32 v45, 0x3a79, v81
	v_add3_u32 v100, 0, v37, v38
	v_mul_u32_u24_sdwa v39, v39, v84 dst_sel:DWORD dst_unused:UNUSED_PAD src0_sel:WORD_0 src1_sel:DWORD
	v_fmac_f16_e32 v99, 0x34f2, v94
	v_fmac_f16_e32 v96, 0x34f2, v46
	v_mul_f16_e32 v46, 0x3b9c, v97
	v_fmac_f16_e32 v1, 0x34f2, v19
	v_add_f16_e32 v19, v43, v35
	v_sub_f16_e32 v35, v43, v35
	v_add_f16_e32 v43, v91, v45
	v_mul_f16_e32 v49, 0x34f2, v0
	v_sub_f16_e32 v45, v91, v45
	v_mul_f16_e32 v91, 0x3a79, v92
	s_waitcnt lgkmcnt(0)
	s_barrier
	buffer_gl0_inv
	ds_write_b16 v100, v75
	ds_write_b16 v100, v58 offset:18
	ds_write_b16 v100, v52 offset:36
	;; [unrolled: 1-line block ×5, first 2 shown]
	v_add3_u32 v71, 0, v39, v40
	ds_write_b16 v100, v47 offset:108
	ds_write_b16 v100, v61 offset:126
	;; [unrolled: 1-line block ×4, first 2 shown]
	ds_write_b16 v71, v55
	ds_write_b16 v71, v51 offset:18
	v_mul_u32_u24_e32 v36, 0xb4, v41
	v_lshlrev_b32_sdwa v39, v29, v42 dst_sel:DWORD dst_unused:UNUSED_PAD src0_sel:DWORD src1_sel:WORD_0
	v_fmac_f16_e32 v46, 0x34f2, v99
	v_fma_f16 v49, v1, 0x3b9c, -v49
	v_fma_f16 v91, v96, 0x38b4, -v91
	ds_write_b16 v71, v57 offset:36
	ds_write_b16 v71, v59 offset:54
	;; [unrolled: 1-line block ×4, first 2 shown]
	v_add3_u32 v74, 0, v36, v39
	v_add_f16_e32 v94, v95, v46
	v_sub_f16_e32 v46, v95, v46
	v_add_f16_e32 v95, v34, v49
	v_sub_f16_e32 v34, v34, v49
	;; [unrolled: 2-line block ×3, first 2 shown]
	ds_write_b16 v71, v23 offset:108
	ds_write_b16 v71, v44 offset:126
	;; [unrolled: 1-line block ×4, first 2 shown]
	ds_write_b16 v74, v19
	ds_write_b16 v74, v43 offset:18
	ds_write_b16 v74, v94 offset:36
	;; [unrolled: 1-line block ×9, first 2 shown]
	v_add_f16_e32 v19, v15, v63
	s_waitcnt lgkmcnt(0)
	s_barrier
	buffer_gl0_inv
	ds_read_u16 v49, v27 offset:1512
	ds_read_u16 v35, v27
	ds_read_u16 v34, v27 offset:216
	ds_read_u16 v23, v27 offset:432
	;; [unrolled: 1-line block ×28, first 2 shown]
	s_waitcnt lgkmcnt(0)
	s_barrier
	buffer_gl0_inv
	ds_write_b16 v100, v68
	ds_write_b16 v100, v77 offset:18
	ds_write_b16 v100, v78 offset:36
	;; [unrolled: 1-line block ×9, first 2 shown]
	v_add_f16_e32 v19, v19, v62
	v_add_f16_e32 v69, v62, v64
	;; [unrolled: 1-line block ×3, first 2 shown]
	v_sub_f16_e32 v65, v65, v67
	v_sub_f16_e32 v18, v66, v18
	v_add_f16_e32 v19, v19, v64
	v_fma_f16 v67, -0.5, v69, v15
	v_fmac_f16_e32 v15, -0.5, v70
	v_sub_f16_e32 v66, v63, v62
	v_sub_f16_e32 v68, v17, v64
	;; [unrolled: 1-line block ×3, first 2 shown]
	v_add_f16_e32 v19, v19, v17
	v_sub_f16_e32 v17, v64, v17
	v_fmamk_f16 v64, v65, 0x3b9c, v15
	v_fmac_f16_e32 v15, 0xbb9c, v65
	v_add_f16_e32 v20, v88, v20
	v_mul_f16_e32 v6, 0x34f2, v6
	v_add_f16_e32 v17, v62, v17
	v_fmamk_f16 v63, v18, 0xbb9c, v67
	v_fmac_f16_e32 v15, 0x38b4, v18
	v_fmac_f16_e32 v67, 0x3b9c, v18
	;; [unrolled: 1-line block ×3, first 2 shown]
	v_add_f16_e32 v18, v20, v53
	v_mul_f16_e32 v20, 0xbb9c, v85
	v_fmac_f16_e32 v15, 0x34f2, v17
	v_fma_f16 v3, v3, 0xbb9c, -v6
	v_add_f16_e32 v66, v66, v68
	v_fmac_f16_e32 v63, 0xb8b4, v65
	v_fmac_f16_e32 v67, 0x38b4, v65
	;; [unrolled: 1-line block ×3, first 2 shown]
	v_mul_f16_e32 v53, 0x3a79, v86
	v_fmac_f16_e32 v20, 0x34f2, v90
	v_add_f16_e32 v62, v15, v3
	v_sub_f16_e32 v3, v15, v3
	v_add_f16_e32 v15, v80, v2
	v_fmac_f16_e32 v63, 0x34f2, v66
	v_fmac_f16_e32 v67, 0x34f2, v66
	v_fma_f16 v6, v79, 0xb8b4, -v53
	v_add_f16_e32 v53, v64, v20
	v_sub_f16_e32 v20, v64, v20
	v_sub_f16_e32 v13, v16, v13
	;; [unrolled: 1-line block ×3, first 2 shown]
	v_add_f16_e32 v15, v15, v7
	v_sub_f16_e32 v64, v11, v9
	v_add_f16_e32 v65, v7, v9
	v_add_f16_e32 v66, v2, v11
	v_sub_f16_e32 v10, v10, v12
	v_add_f16_e32 v12, v15, v9
	v_add_f16_e32 v15, v16, v64
	v_fma_f16 v16, -0.5, v65, v80
	v_fmac_f16_e32 v80, -0.5, v66
	v_sub_f16_e32 v2, v7, v2
	v_add_f16_e32 v7, v12, v11
	v_sub_f16_e32 v9, v9, v11
	v_fmamk_f16 v11, v13, 0xbb9c, v16
	v_fmamk_f16 v12, v10, 0x3b9c, v80
	v_fmac_f16_e32 v80, 0xbb9c, v10
	v_fmac_f16_e32 v16, 0x3b9c, v13
	v_add_f16_e32 v4, v93, v4
	v_add_f16_e32 v2, v2, v9
	v_fmac_f16_e32 v12, 0xb8b4, v13
	v_fmac_f16_e32 v80, 0x38b4, v13
	;; [unrolled: 1-line block ×4, first 2 shown]
	v_add_f16_e32 v4, v4, v5
	v_fmac_f16_e32 v12, 0x34f2, v2
	v_fmac_f16_e32 v80, 0x34f2, v2
	v_mul_f16_e32 v2, 0xb8b4, v81
	v_mul_f16_e32 v5, 0xbb9c, v99
	;; [unrolled: 1-line block ×5, first 2 shown]
	v_add_f16_e32 v14, v18, v14
	v_fmac_f16_e32 v11, 0x34f2, v15
	v_fmac_f16_e32 v16, 0x34f2, v15
	v_add_f16_e32 v4, v4, v8
	v_fmac_f16_e32 v2, 0x3a79, v98
	v_fmac_f16_e32 v5, 0x34f2, v97
	v_fma_f16 v0, v0, 0xbb9c, -v1
	v_fma_f16 v1, v92, 0xb8b4, -v9
	v_fmac_f16_e32 v17, 0x3a79, v89
	v_add_f16_e32 v18, v19, v14
	v_add_f16_e32 v8, v7, v4
	v_sub_f16_e32 v4, v7, v4
	v_add_f16_e32 v7, v11, v2
	v_sub_f16_e32 v2, v11, v2
	;; [unrolled: 2-line block ×5, first 2 shown]
	v_add_nc_u32_e32 v1, 0xffffffa6, v26
	v_sub_f16_e32 v14, v19, v14
	v_add_f16_e32 v19, v63, v17
	v_sub_f16_e32 v17, v63, v17
	v_add_f16_e32 v63, v67, v6
	v_sub_f16_e32 v6, v67, v6
	ds_write_b16 v71, v18
	ds_write_b16 v71, v19 offset:18
	ds_write_b16 v71, v53 offset:36
	v_cndmask_b32_e64 v53, v1, v26, s0
	ds_write_b16 v71, v62 offset:54
	ds_write_b16 v71, v63 offset:72
	;; [unrolled: 1-line block ×7, first 2 shown]
	ds_write_b16 v74, v8
	ds_write_b16 v74, v7 offset:18
	ds_write_b16 v74, v9 offset:36
	;; [unrolled: 1-line block ×8, first 2 shown]
	v_mul_lo_u16 v4, 0xb7, v33
	v_mul_i32_i24_e32 v19, 5, v53
	v_mov_b32_e32 v20, 0
	ds_write_b16 v74, v12 offset:162
	v_mov_b32_e32 v12, 0x2d83
	v_lshrrev_b16 v33, 14, v4
	s_waitcnt lgkmcnt(0)
	v_lshlrev_b64 v[0:1], 2, v[19:20]
	s_barrier
	buffer_gl0_inv
	v_mul_lo_u16 v4, 0x5a, v33
	v_mov_b32_e32 v16, 5
	v_lshlrev_b32_e32 v53, 1, v53
	v_add_co_u32 v66, s0, s8, v0
	v_add_co_ci_u32_e64 v67, s0, s9, v1, s0
	v_sub_nc_u16 v62, v32, v4
	v_mul_u32_u24_sdwa v4, v31, v12 dst_sel:DWORD dst_unused:UNUSED_PAD src0_sel:WORD_0 src1_sel:DWORD
	v_cmp_lt_u32_e64 s0, 0x59, v26
	global_load_dwordx4 v[0:3], v[66:67], off offset:348
	v_mul_u32_u24_sdwa v5, v62, v16 dst_sel:DWORD dst_unused:UNUSED_PAD src0_sel:BYTE_0 src1_sel:DWORD
	v_lshrrev_b32_e32 v32, 20, v4
	v_lshlrev_b32_e32 v68, 2, v5
	v_mul_lo_u16 v8, 0x5a, v32
	global_load_dwordx4 v[4:7], v68, s[8:9] offset:348
	v_sub_nc_u16 v31, v31, v8
	v_mul_u32_u24_sdwa v8, v30, v12 dst_sel:DWORD dst_unused:UNUSED_PAD src0_sel:WORD_0 src1_sel:DWORD
	v_mul_u32_u24_sdwa v12, v28, v12 dst_sel:DWORD dst_unused:UNUSED_PAD src0_sel:WORD_0 src1_sel:DWORD
	;; [unrolled: 1-line block ×3, first 2 shown]
	v_lshrrev_b32_e32 v63, 20, v8
	v_lshrrev_b32_e32 v64, 20, v12
	v_lshlrev_b32_e32 v71, 2, v9
	v_mul_lo_u16 v13, 0x5a, v63
	v_mul_lo_u16 v17, 0x5a, v64
	global_load_dwordx4 v[8:11], v71, s[8:9] offset:348
	v_sub_nc_u16 v30, v30, v13
	v_sub_nc_u16 v65, v28, v17
	v_mul_u32_u24_sdwa v13, v30, v16 dst_sel:DWORD dst_unused:UNUSED_PAD src0_sel:WORD_0 src1_sel:DWORD
	v_mul_u32_u24_sdwa v16, v65, v16 dst_sel:DWORD dst_unused:UNUSED_PAD src0_sel:WORD_0 src1_sel:DWORD
	v_lshlrev_b32_e32 v72, 2, v13
	v_lshlrev_b32_e32 v73, 2, v16
	s_clause 0x6
	global_load_dwordx4 v[12:15], v72, s[8:9] offset:348
	global_load_dwordx4 v[16:19], v73, s[8:9] offset:348
	global_load_dword v70, v[66:67], off offset:364
	global_load_dword v69, v68, s[8:9] offset:364
	global_load_dword v68, v71, s[8:9] offset:364
	;; [unrolled: 1-line block ×4, first 2 shown]
	ds_read_u16 v76, v27 offset:1080
	ds_read_u16 v75, v27 offset:2160
	;; [unrolled: 1-line block ×13, first 2 shown]
	s_waitcnt vmcnt(9) lgkmcnt(12)
	v_mul_f16_sdwa v78, v76, v0 dst_sel:DWORD dst_unused:UNUSED_PAD src0_sel:DWORD src1_sel:WORD_1
	v_mul_f16_sdwa v79, v60, v0 dst_sel:DWORD dst_unused:UNUSED_PAD src0_sel:DWORD src1_sel:WORD_1
	s_waitcnt lgkmcnt(11)
	v_mul_f16_sdwa v85, v75, v1 dst_sel:DWORD dst_unused:UNUSED_PAD src0_sel:DWORD src1_sel:WORD_1
	s_waitcnt lgkmcnt(9)
	v_mul_f16_sdwa v91, v73, v3 dst_sel:DWORD dst_unused:UNUSED_PAD src0_sel:DWORD src1_sel:WORD_1
	v_fma_f16 v60, v60, v0, -v78
	v_mul_f16_sdwa v78, v61, v1 dst_sel:DWORD dst_unused:UNUSED_PAD src0_sel:DWORD src1_sel:WORD_1
	v_fmac_f16_e32 v79, v76, v0
	v_fma_f16 v0, v61, v1, -v85
	ds_read_u16 v61, v27 offset:3456
	v_mul_f16_sdwa v76, v74, v2 dst_sel:DWORD dst_unused:UNUSED_PAD src0_sel:DWORD src1_sel:WORD_1
	v_fmac_f16_e32 v78, v75, v1
	ds_read_u16 v75, v27 offset:4536
	ds_read_u16 v85, v27 offset:4752
	;; [unrolled: 1-line block ×6, first 2 shown]
	v_mul_f16_sdwa v1, v58, v2 dst_sel:DWORD dst_unused:UNUSED_PAD src0_sel:DWORD src1_sel:WORD_1
	v_fma_f16 v58, v58, v2, -v76
	v_mul_f16_sdwa v76, v59, v3 dst_sel:DWORD dst_unused:UNUSED_PAD src0_sel:DWORD src1_sel:WORD_1
	v_fma_f16 v59, v59, v3, -v91
	v_fmac_f16_e32 v1, v74, v2
	s_waitcnt vmcnt(8) lgkmcnt(15)
	v_mul_f16_sdwa v2, v72, v4 dst_sel:DWORD dst_unused:UNUSED_PAD src0_sel:DWORD src1_sel:WORD_1
	v_mul_f16_sdwa v74, v56, v4 dst_sel:DWORD dst_unused:UNUSED_PAD src0_sel:DWORD src1_sel:WORD_1
	v_fmac_f16_e32 v76, v73, v3
	s_waitcnt lgkmcnt(12)
	v_mul_f16_sdwa v3, v80, v5 dst_sel:DWORD dst_unused:UNUSED_PAD src0_sel:DWORD src1_sel:WORD_1
	v_mul_f16_sdwa v73, v57, v5 dst_sel:DWORD dst_unused:UNUSED_PAD src0_sel:DWORD src1_sel:WORD_1
	v_fma_f16 v56, v56, v4, -v2
	v_fmac_f16_e32 v74, v72, v4
	v_fma_f16 v57, v57, v5, -v3
	v_mul_f16_sdwa v3, v54, v6 dst_sel:DWORD dst_unused:UNUSED_PAD src0_sel:DWORD src1_sel:WORD_1
	s_waitcnt lgkmcnt(6)
	v_mul_f16_sdwa v2, v61, v6 dst_sel:DWORD dst_unused:UNUSED_PAD src0_sel:DWORD src1_sel:WORD_1
	s_waitcnt lgkmcnt(5)
	v_mul_f16_sdwa v4, v75, v7 dst_sel:DWORD dst_unused:UNUSED_PAD src0_sel:DWORD src1_sel:WORD_1
	v_fmac_f16_e32 v73, v80, v5
	s_waitcnt vmcnt(7)
	v_mul_f16_sdwa v5, v81, v9 dst_sel:DWORD dst_unused:UNUSED_PAD src0_sel:DWORD src1_sel:WORD_1
	v_fmac_f16_e32 v3, v61, v6
	v_fma_f16 v2, v54, v6, -v2
	v_mul_f16_sdwa v54, v55, v7 dst_sel:DWORD dst_unused:UNUSED_PAD src0_sel:DWORD src1_sel:WORD_1
	v_fma_f16 v55, v55, v7, -v4
	v_mul_f16_sdwa v4, v71, v8 dst_sel:DWORD dst_unused:UNUSED_PAD src0_sel:DWORD src1_sel:WORD_1
	v_mul_f16_sdwa v61, v49, v8 dst_sel:DWORD dst_unused:UNUSED_PAD src0_sel:DWORD src1_sel:WORD_1
	;; [unrolled: 1-line block ×3, first 2 shown]
	v_fma_f16 v52, v52, v9, -v5
	v_mul_f16_sdwa v5, v50, v10 dst_sel:DWORD dst_unused:UNUSED_PAD src0_sel:DWORD src1_sel:WORD_1
	v_fma_f16 v49, v49, v8, -v4
	v_fmac_f16_e32 v61, v71, v8
	s_waitcnt lgkmcnt(2)
	v_mul_f16_sdwa v4, v88, v10 dst_sel:DWORD dst_unused:UNUSED_PAD src0_sel:DWORD src1_sel:WORD_1
	v_mul_f16_sdwa v6, v85, v11 dst_sel:DWORD dst_unused:UNUSED_PAD src0_sel:DWORD src1_sel:WORD_1
	v_fmac_f16_e32 v72, v81, v9
	v_mul_f16_sdwa v71, v51, v11 dst_sel:DWORD dst_unused:UNUSED_PAD src0_sel:DWORD src1_sel:WORD_1
	ds_read_u16 v9, v27 offset:5184
	v_fma_f16 v4, v50, v10, -v4
	v_fmac_f16_e32 v5, v88, v10
	ds_read_u16 v10, v27 offset:5400
	v_fma_f16 v50, v51, v11, -v6
	s_waitcnt vmcnt(6)
	v_mul_f16_sdwa v6, v86, v12 dst_sel:DWORD dst_unused:UNUSED_PAD src0_sel:DWORD src1_sel:WORD_1
	v_fmac_f16_e32 v71, v85, v11
	ds_read_u16 v11, v27 offset:5616
	v_fmac_f16_e32 v54, v75, v7
	v_mul_f16_sdwa v51, v47, v12 dst_sel:DWORD dst_unused:UNUSED_PAD src0_sel:DWORD src1_sel:WORD_1
	v_mul_f16_sdwa v7, v82, v13 dst_sel:DWORD dst_unused:UNUSED_PAD src0_sel:DWORD src1_sel:WORD_1
	;; [unrolled: 1-line block ×3, first 2 shown]
	v_fma_f16 v47, v47, v12, -v6
	s_waitcnt lgkmcnt(4)
	v_mul_f16_sdwa v6, v89, v14 dst_sel:DWORD dst_unused:UNUSED_PAD src0_sel:DWORD src1_sel:WORD_1
	v_mul_f16_sdwa v8, v87, v15 dst_sel:DWORD dst_unused:UNUSED_PAD src0_sel:DWORD src1_sel:WORD_1
	v_fma_f16 v48, v48, v13, -v7
	v_fmac_f16_e32 v75, v82, v13
	ds_read_u16 v13, v27 offset:5832
	v_mul_f16_sdwa v7, v43, v14 dst_sel:DWORD dst_unused:UNUSED_PAD src0_sel:DWORD src1_sel:WORD_1
	v_mul_f16_sdwa v80, v44, v15 dst_sel:DWORD dst_unused:UNUSED_PAD src0_sel:DWORD src1_sel:WORD_1
	v_fma_f16 v6, v43, v14, -v6
	v_fma_f16 v43, v44, v15, -v8
	s_waitcnt vmcnt(5)
	v_mul_f16_sdwa v8, v84, v16 dst_sel:DWORD dst_unused:UNUSED_PAD src0_sel:DWORD src1_sel:WORD_1
	v_mul_f16_sdwa v44, v46, v16 dst_sel:DWORD dst_unused:UNUSED_PAD src0_sel:DWORD src1_sel:WORD_1
	v_fmac_f16_e32 v51, v86, v12
	v_fmac_f16_e32 v7, v89, v14
	;; [unrolled: 1-line block ×3, first 2 shown]
	v_mul_f16_sdwa v12, v83, v17 dst_sel:DWORD dst_unused:UNUSED_PAD src0_sel:DWORD src1_sel:WORD_1
	v_fma_f16 v46, v46, v16, -v8
	v_fmac_f16_e32 v44, v84, v16
	s_waitcnt lgkmcnt(4)
	v_mul_f16_sdwa v8, v90, v18 dst_sel:DWORD dst_unused:UNUSED_PAD src0_sel:DWORD src1_sel:WORD_1
	ds_read_u16 v14, v27 offset:6048
	ds_read_u16 v15, v27 offset:6264
	s_waitcnt lgkmcnt(5)
	v_mul_f16_sdwa v16, v9, v19 dst_sel:DWORD dst_unused:UNUSED_PAD src0_sel:DWORD src1_sel:WORD_1
	v_mul_f16_sdwa v82, v45, v19 dst_sel:DWORD dst_unused:UNUSED_PAD src0_sel:DWORD src1_sel:WORD_1
	;; [unrolled: 1-line block ×3, first 2 shown]
	v_fma_f16 v42, v42, v17, -v12
	v_mul_f16_sdwa v12, v40, v18 dst_sel:DWORD dst_unused:UNUSED_PAD src0_sel:DWORD src1_sel:WORD_1
	v_fma_f16 v8, v40, v18, -v8
	v_fma_f16 v40, v45, v19, -v16
	v_fmac_f16_e32 v82, v9, v19
	s_waitcnt vmcnt(4)
	v_mul_f16_sdwa v9, v41, v70 dst_sel:DWORD dst_unused:UNUSED_PAD src0_sel:DWORD src1_sel:WORD_1
	s_waitcnt vmcnt(3) lgkmcnt(3)
	v_mul_f16_sdwa v16, v11, v69 dst_sel:DWORD dst_unused:UNUSED_PAD src0_sel:DWORD src1_sel:WORD_1
	v_fmac_f16_e32 v81, v83, v17
	v_mul_f16_sdwa v17, v10, v70 dst_sel:DWORD dst_unused:UNUSED_PAD src0_sel:DWORD src1_sel:WORD_1
	v_fmac_f16_e32 v12, v90, v18
	v_fmac_f16_e32 v9, v10, v70
	v_fma_f16 v10, v39, v69, -v16
	ds_read_u16 v16, v27
	v_mul_f16_sdwa v19, v39, v69 dst_sel:DWORD dst_unused:UNUSED_PAD src0_sel:DWORD src1_sel:WORD_1
	s_waitcnt vmcnt(2) lgkmcnt(3)
	v_mul_f16_sdwa v18, v13, v68 dst_sel:DWORD dst_unused:UNUSED_PAD src0_sel:DWORD src1_sel:WORD_1
	v_mul_f16_sdwa v39, v38, v68 dst_sel:DWORD dst_unused:UNUSED_PAD src0_sel:DWORD src1_sel:WORD_1
	v_fma_f16 v17, v41, v70, -v17
	s_waitcnt vmcnt(0)
	v_mul_f16_sdwa v41, v36, v66 dst_sel:DWORD dst_unused:UNUSED_PAD src0_sel:DWORD src1_sel:WORD_1
	v_fmac_f16_e32 v19, v11, v69
	v_fma_f16 v11, v38, v68, -v18
	v_mul_f16_sdwa v38, v37, v67 dst_sel:DWORD dst_unused:UNUSED_PAD src0_sel:DWORD src1_sel:WORD_1
	v_fmac_f16_e32 v39, v13, v68
	s_waitcnt lgkmcnt(1)
	v_mul_f16_sdwa v13, v15, v66 dst_sel:DWORD dst_unused:UNUSED_PAD src0_sel:DWORD src1_sel:WORD_1
	v_mul_f16_sdwa v18, v14, v67 dst_sel:DWORD dst_unused:UNUSED_PAD src0_sel:DWORD src1_sel:WORD_1
	v_fmac_f16_e32 v41, v15, v66
	v_fmac_f16_e32 v38, v14, v67
	v_add_f16_e32 v14, v0, v59
	v_fma_f16 v13, v36, v66, -v13
	v_add_f16_e32 v15, v78, v76
	v_add_f16_e32 v36, v35, v0
	v_fma_f16 v18, v37, v67, -v18
	v_fmac_f16_e32 v35, -0.5, v14
	s_waitcnt lgkmcnt(0)
	v_add_f16_e32 v14, v16, v78
	v_sub_f16_e32 v67, v78, v76
	v_fmac_f16_e32 v16, -0.5, v15
	v_add_f16_e32 v15, v36, v59
	v_add_f16_e32 v36, v58, v17
	;; [unrolled: 1-line block ×3, first 2 shown]
	v_sub_f16_e32 v0, v0, v59
	v_fmamk_f16 v59, v67, 0x3aee, v35
	v_fmac_f16_e32 v35, 0xbaee, v67
	v_add_f16_e32 v67, v60, v58
	v_fmac_f16_e32 v60, -0.5, v36
	v_add_f16_e32 v36, v79, v1
	v_fmac_f16_e32 v79, -0.5, v68
	v_sub_f16_e32 v58, v58, v17
	v_sub_f16_e32 v1, v1, v9
	v_fmamk_f16 v68, v0, 0xbaee, v16
	v_fmac_f16_e32 v16, 0x3aee, v0
	v_add_f16_e32 v14, v14, v76
	v_fmamk_f16 v0, v58, 0xbaee, v79
	v_fmamk_f16 v69, v1, 0x3aee, v60
	v_fmac_f16_e32 v60, 0xbaee, v1
	v_fmac_f16_e32 v79, 0x3aee, v58
	v_add_f16_e32 v1, v67, v17
	v_mul_f16_e32 v17, 0x3aee, v0
	v_mul_f16_e32 v58, 0xbaee, v69
	v_mul_f16_e32 v67, -0.5, v60
	v_mul_f16_e32 v70, -0.5, v79
	v_add_f16_e32 v9, v36, v9
	v_fmac_f16_e32 v17, 0.5, v69
	v_fmac_f16_e32 v58, 0.5, v0
	v_fmac_f16_e32 v67, 0x3aee, v79
	v_fmac_f16_e32 v70, 0xbaee, v60
	v_add_f16_e32 v0, v15, v1
	v_sub_f16_e32 v1, v15, v1
	v_add_f16_e32 v15, v59, v17
	v_add_f16_e32 v36, v35, v67
	v_sub_f16_e32 v35, v35, v67
	v_add_f16_e32 v67, v68, v58
	v_sub_f16_e32 v58, v68, v58
	v_add_f16_e32 v68, v16, v70
	v_sub_f16_e32 v69, v16, v70
	v_add_f16_e32 v16, v2, v10
	v_sub_f16_e32 v17, v59, v17
	v_add_f16_e32 v59, v14, v9
	v_sub_f16_e32 v60, v14, v9
	v_add_f16_e32 v9, v3, v19
	v_add_f16_e32 v70, v56, v2
	;; [unrolled: 1-line block ×3, first 2 shown]
	v_fmac_f16_e32 v56, -0.5, v16
	v_sub_f16_e32 v3, v3, v19
	v_fmac_f16_e32 v74, -0.5, v9
	v_sub_f16_e32 v2, v2, v10
	v_add_f16_e32 v83, v23, v52
	v_add_f16_e32 v84, v4, v11
	v_fmamk_f16 v79, v3, 0x3aee, v56
	v_fmac_f16_e32 v56, 0xbaee, v3
	v_add_f16_e32 v3, v70, v10
	v_add_f16_e32 v70, v52, v50
	;; [unrolled: 1-line block ×4, first 2 shown]
	v_fmamk_f16 v78, v2, 0xbaee, v74
	v_add_f16_e32 v86, v49, v4
	v_fmac_f16_e32 v23, -0.5, v70
	v_add_f16_e32 v70, v5, v39
	v_fmac_f16_e32 v49, -0.5, v84
	v_add_f16_e32 v84, v61, v5
	v_sub_f16_e32 v4, v4, v11
	v_fmac_f16_e32 v34, -0.5, v14
	v_fmac_f16_e32 v61, -0.5, v70
	v_sub_f16_e32 v14, v73, v54
	v_mul_f16_e32 v10, 0x3aee, v78
	v_fmac_f16_e32 v74, 0x3aee, v2
	v_add_f16_e32 v2, v9, v55
	v_mul_f16_e32 v9, -0.5, v56
	v_sub_f16_e32 v5, v5, v39
	v_add_f16_e32 v11, v86, v11
	v_fmamk_f16 v86, v4, 0xbaee, v61
	v_fmamk_f16 v16, v14, 0x3aee, v34
	v_fmac_f16_e32 v10, 0.5, v79
	v_fmac_f16_e32 v34, 0xbaee, v14
	v_fmac_f16_e32 v9, 0x3aee, v74
	v_sub_f16_e32 v85, v72, v71
	v_fmamk_f16 v70, v5, 0x3aee, v49
	v_fmac_f16_e32 v61, 0x3aee, v4
	v_mul_f16_e32 v4, 0x3aee, v86
	v_add_f16_e32 v14, v2, v3
	v_sub_f16_e32 v2, v2, v3
	v_add_f16_e32 v3, v16, v10
	v_sub_f16_e32 v10, v16, v10
	;; [unrolled: 2-line block ×3, first 2 shown]
	v_fmamk_f16 v34, v85, 0x3aee, v23
	v_fmac_f16_e32 v49, 0xbaee, v5
	v_fmac_f16_e32 v4, 0.5, v70
	v_add_f16_e32 v5, v83, v50
	v_add_f16_e32 v88, v7, v38
	v_fmac_f16_e32 v23, 0xbaee, v85
	v_mul_f16_e32 v83, -0.5, v49
	v_add_f16_e32 v89, v34, v4
	v_sub_f16_e32 v4, v34, v4
	v_add_f16_e32 v34, v6, v18
	v_add_f16_e32 v90, v51, v7
	v_fmac_f16_e32 v83, 0x3aee, v61
	v_fmac_f16_e32 v51, -0.5, v88
	v_sub_f16_e32 v88, v6, v18
	v_add_f16_e32 v6, v47, v6
	v_fmac_f16_e32 v47, -0.5, v34
	v_sub_f16_e32 v7, v7, v38
	v_add_f16_e32 v85, v5, v11
	v_add_f16_e32 v87, v48, v43
	v_sub_f16_e32 v5, v5, v11
	v_add_f16_e32 v11, v22, v48
	v_add_f16_e32 v91, v23, v83
	v_fmamk_f16 v92, v88, 0xbaee, v51
	v_sub_f16_e32 v23, v23, v83
	v_fmamk_f16 v83, v7, 0x3aee, v47
	v_fmac_f16_e32 v47, 0xbaee, v7
	v_fmac_f16_e32 v22, -0.5, v87
	v_sub_f16_e32 v87, v75, v80
	v_add_f16_e32 v6, v6, v18
	v_mul_f16_e32 v18, 0x3aee, v92
	v_add_f16_e32 v7, v11, v43
	v_fmac_f16_e32 v51, 0x3aee, v88
	v_mul_f16_e32 v11, -0.5, v47
	v_add_f16_e32 v88, v42, v40
	v_add_f16_e32 v94, v12, v41
	v_fmamk_f16 v34, v87, 0x3aee, v22
	v_fmac_f16_e32 v22, 0xbaee, v87
	v_fmac_f16_e32 v18, 0.5, v83
	v_fmac_f16_e32 v11, 0x3aee, v51
	v_add_f16_e32 v93, v21, v42
	v_fmac_f16_e32 v21, -0.5, v88
	v_sub_f16_e32 v88, v81, v82
	v_add_f16_e32 v95, v8, v13
	v_add_f16_e32 v96, v44, v12
	v_fmac_f16_e32 v44, -0.5, v94
	v_sub_f16_e32 v94, v8, v13
	v_add_f16_e32 v87, v7, v6
	v_sub_f16_e32 v6, v7, v6
	v_add_f16_e32 v7, v34, v18
	;; [unrolled: 2-line block ×3, first 2 shown]
	v_sub_f16_e32 v11, v22, v11
	v_fmamk_f16 v22, v88, 0x3aee, v21
	v_add_f16_e32 v8, v46, v8
	v_fmac_f16_e32 v46, -0.5, v95
	v_sub_f16_e32 v12, v12, v41
	v_fmac_f16_e32 v21, 0xbaee, v88
	v_fmamk_f16 v88, v94, 0xbaee, v44
	v_cndmask_b32_e64 v95, 0, 0x438, s0
	v_add_f16_e32 v8, v8, v13
	v_add_f16_e32 v13, v93, v40
	v_fmamk_f16 v93, v12, 0x3aee, v46
	v_fmac_f16_e32 v46, 0xbaee, v12
	v_mul_f16_e32 v12, 0x3aee, v88
	v_add3_u32 v53, 0, v95, v53
	v_fmac_f16_e32 v44, 0x3aee, v94
	v_add_f16_e32 v94, v13, v8
	v_sub_f16_e32 v8, v13, v8
	v_mul_f16_e32 v13, -0.5, v46
	v_fmac_f16_e32 v12, 0.5, v93
	ds_read_u16 v37, v27 offset:216
	ds_read_u16 v45, v27 offset:432
	;; [unrolled: 1-line block ×3, first 2 shown]
	s_waitcnt lgkmcnt(0)
	s_barrier
	buffer_gl0_inv
	ds_write_b16 v53, v0
	ds_write_b16 v53, v15 offset:180
	ds_write_b16 v53, v36 offset:360
	;; [unrolled: 1-line block ×3, first 2 shown]
	v_mul_u32_u24_e32 v0, 0x438, v32
	v_lshlrev_b32_sdwa v1, v29, v31 dst_sel:DWORD dst_unused:UNUSED_PAD src0_sel:DWORD src1_sel:WORD_0
	v_fmac_f16_e32 v13, 0x3aee, v44
	v_add_f16_e32 v97, v22, v12
	v_sub_f16_e32 v12, v22, v12
	v_mov_b32_e32 v22, 0x438
	v_add3_u32 v98, 0, v0, v1
	v_mul_u32_u24_e32 v0, 0x438, v63
	v_lshlrev_b32_sdwa v1, v29, v30 dst_sel:DWORD dst_unused:UNUSED_PAD src0_sel:DWORD src1_sel:WORD_0
	v_add_f16_e32 v95, v21, v13
	v_sub_f16_e32 v13, v21, v13
	v_mul_u32_u24_sdwa v21, v33, v22 dst_sel:DWORD dst_unused:UNUSED_PAD src0_sel:WORD_0 src1_sel:DWORD
	v_lshlrev_b32_sdwa v22, v29, v62 dst_sel:DWORD dst_unused:UNUSED_PAD src0_sel:DWORD src1_sel:BYTE_0
	v_add3_u32 v63, 0, v0, v1
	v_lshlrev_b32_sdwa v0, v29, v65 dst_sel:DWORD dst_unused:UNUSED_PAD src0_sel:DWORD src1_sel:WORD_0
	v_mul_u32_u24_e32 v1, 0x438, v64
	v_sub_f16_e32 v55, v57, v55
	v_add3_u32 v62, 0, v21, v22
	ds_write_b16 v53, v17 offset:720
	ds_write_b16 v53, v35 offset:900
	ds_write_b16 v62, v14
	ds_write_b16 v62, v3 offset:180
	v_add3_u32 v64, 0, v1, v0
	ds_write_b16 v62, v16 offset:360
	ds_write_b16 v62, v2 offset:540
	ds_write_b16 v62, v10 offset:720
	ds_write_b16 v62, v9 offset:900
	ds_write_b16 v98, v85
	ds_write_b16 v98, v89 offset:180
	ds_write_b16 v98, v91 offset:360
	ds_write_b16 v98, v5 offset:540
	ds_write_b16 v98, v4 offset:720
	ds_write_b16 v98, v23 offset:900
	ds_write_b16 v63, v87
	ds_write_b16 v63, v7 offset:180
	;; [unrolled: 6-line block ×3, first 2 shown]
	ds_write_b16 v64, v95 offset:360
	ds_write_b16 v64, v8 offset:540
	;; [unrolled: 1-line block ×4, first 2 shown]
	s_waitcnt lgkmcnt(0)
	s_barrier
	buffer_gl0_inv
	ds_read_u16 v15, v27 offset:1512
	ds_read_u16 v0, v27
	ds_read_u16 v6, v27 offset:216
	ds_read_u16 v7, v27 offset:432
	ds_read_u16 v10, v27 offset:648
	ds_read_u16 v22, v27 offset:1728
	ds_read_u16 v18, v27 offset:2592
	ds_read_u16 v29, v27 offset:2808
	ds_read_u16 v8, v27 offset:3456
	ds_read_u16 v17, v27 offset:3672
	ds_read_u16 v23, v27 offset:3888
	ds_read_u16 v21, v27 offset:4752
	ds_read_u16 v30, v27 offset:4968
	ds_read_u16 v9, v27 offset:1296
	ds_read_u16 v2, v27 offset:1080
	ds_read_u16 v14, v27 offset:864
	ds_read_u16 v4, v27 offset:3240
	ds_read_u16 v34, v27 offset:3024
	ds_read_u16 v11, v27 offset:2376
	ds_read_u16 v1, v27 offset:2160
	ds_read_u16 v33, v27 offset:1944
	ds_read_u16 v12, v27 offset:4536
	ds_read_u16 v3, v27 offset:4320
	ds_read_u16 v35, v27 offset:4104
	ds_read_u16 v16, v27 offset:5832
	ds_read_u16 v31, v27 offset:6048
	ds_read_u16 v32, v27 offset:6264
	ds_read_u16 v13, v27 offset:5616
	ds_read_u16 v5, v27 offset:5400
	ds_read_u16 v36, v27 offset:5184
	s_waitcnt lgkmcnt(0)
	s_barrier
	buffer_gl0_inv
	ds_write_b16 v53, v59
	v_add_f16_e32 v59, v73, v54
	ds_write_b16 v53, v67 offset:180
	ds_write_b16 v53, v68 offset:360
	;; [unrolled: 1-line block ×3, first 2 shown]
	v_add_f16_e32 v60, v37, v73
	ds_write_b16 v53, v58 offset:720
	ds_write_b16 v53, v69 offset:900
	v_mul_f16_e32 v58, -0.5, v74
	v_fmac_f16_e32 v37, -0.5, v59
	v_add_f16_e32 v19, v76, v19
	v_add_f16_e32 v53, v60, v54
	v_mul_f16_e32 v54, 0xbaee, v79
	v_fmac_f16_e32 v58, 0xbaee, v56
	v_fmamk_f16 v57, v55, 0xbaee, v37
	v_fmac_f16_e32 v37, 0x3aee, v55
	v_add_f16_e32 v55, v72, v71
	v_fmac_f16_e32 v54, 0.5, v78
	v_add_f16_e32 v56, v53, v19
	v_sub_f16_e32 v19, v53, v19
	v_add_f16_e32 v53, v45, v72
	v_fmac_f16_e32 v45, -0.5, v55
	v_sub_f16_e32 v50, v52, v50
	v_add_f16_e32 v52, v57, v54
	v_sub_f16_e32 v54, v57, v54
	v_mul_f16_e32 v57, 0xbaee, v70
	v_add_f16_e32 v55, v37, v58
	v_sub_f16_e32 v37, v37, v58
	v_add_f16_e32 v53, v53, v71
	v_fmamk_f16 v58, v50, 0xbaee, v45
	v_mul_f16_e32 v59, -0.5, v61
	v_add_f16_e32 v39, v84, v39
	v_fmac_f16_e32 v45, 0x3aee, v50
	v_fmac_f16_e32 v57, 0.5, v86
	v_add_f16_e32 v50, v75, v80
	v_fmac_f16_e32 v59, 0xbaee, v49
	v_add_f16_e32 v49, v53, v39
	v_sub_f16_e32 v39, v53, v39
	v_add_f16_e32 v53, v66, v75
	v_fmac_f16_e32 v66, -0.5, v50
	v_sub_f16_e32 v43, v48, v43
	v_add_f16_e32 v48, v58, v57
	v_sub_f16_e32 v50, v58, v57
	v_mul_f16_e32 v58, 0xbaee, v83
	v_add_f16_e32 v57, v45, v59
	v_sub_f16_e32 v45, v45, v59
	v_add_f16_e32 v53, v53, v80
	v_fmamk_f16 v59, v43, 0xbaee, v66
	v_mul_f16_e32 v51, -0.5, v51
	v_add_f16_e32 v38, v90, v38
	v_fmac_f16_e32 v66, 0x3aee, v43
	v_fmac_f16_e32 v58, 0.5, v92
	v_add_f16_e32 v43, v81, v82
	v_fmac_f16_e32 v51, 0xbaee, v47
	v_add_f16_e32 v47, v53, v38
	v_sub_f16_e32 v38, v53, v38
	v_add_f16_e32 v53, v77, v81
	v_fmac_f16_e32 v77, -0.5, v43
	v_sub_f16_e32 v40, v42, v40
	v_add_f16_e32 v42, v59, v58
	v_sub_f16_e32 v43, v59, v58
	v_mul_f16_e32 v59, 0xbaee, v93
	v_mul_f16_e32 v44, -0.5, v44
	v_add_f16_e32 v53, v53, v82
	v_add_f16_e32 v41, v96, v41
	v_fmamk_f16 v60, v40, 0xbaee, v77
	v_fmac_f16_e32 v59, 0.5, v88
	v_fmac_f16_e32 v77, 0x3aee, v40
	v_fmac_f16_e32 v44, 0xbaee, v46
	v_add_f16_e32 v58, v66, v51
	v_sub_f16_e32 v51, v66, v51
	v_add_f16_e32 v40, v53, v41
	v_sub_f16_e32 v41, v53, v41
	;; [unrolled: 2-line block ×4, first 2 shown]
	ds_write_b16 v62, v56
	ds_write_b16 v62, v52 offset:180
	ds_write_b16 v62, v55 offset:360
	ds_write_b16 v62, v19 offset:540
	ds_write_b16 v62, v54 offset:720
	ds_write_b16 v62, v37 offset:900
	ds_write_b16 v98, v49
	ds_write_b16 v98, v48 offset:180
	ds_write_b16 v98, v57 offset:360
	ds_write_b16 v98, v39 offset:540
	ds_write_b16 v98, v50 offset:720
	ds_write_b16 v98, v45 offset:900
	ds_write_b16 v63, v47
	ds_write_b16 v63, v42 offset:180
	ds_write_b16 v63, v58 offset:360
	ds_write_b16 v63, v38 offset:540
	ds_write_b16 v63, v43 offset:720
	ds_write_b16 v63, v51 offset:900
	ds_write_b16 v64, v40
	ds_write_b16 v64, v46 offset:180
	ds_write_b16 v64, v59 offset:360
	ds_write_b16 v64, v41 offset:540
	ds_write_b16 v64, v53 offset:720
	ds_write_b16 v64, v44 offset:900
	s_waitcnt lgkmcnt(0)
	s_barrier
	buffer_gl0_inv
	s_and_saveexec_b32 s0, vcc_lo
	s_cbranch_execz .LBB0_13
; %bb.12:
	v_mul_u32_u24_e32 v19, 5, v28
	v_mul_u32_u24_e32 v37, 5, v26
	v_lshlrev_b32_e32 v19, 2, v19
	v_lshlrev_b32_e32 v37, 2, v37
	v_add_co_u32 v19, s0, s8, v19
	v_add_co_ci_u32_e64 v38, null, s9, 0, s0
	v_add_co_u32 v43, s0, s8, v37
	v_add_co_u32 v41, vcc_lo, 0x800, v19
	v_mad_u32_u24 v19, v28, 5, 0xfffffde4
	v_add_co_ci_u32_e64 v44, null, s9, 0, s0
	v_add_co_ci_u32_e32 v42, vcc_lo, 0, v38, vcc_lo
	v_lshlrev_b64 v[47:48], 2, v[19:20]
	v_add_co_u32 v45, vcc_lo, 0x800, v43
	v_add_co_ci_u32_e32 v46, vcc_lo, 0, v44, vcc_lo
	s_clause 0x1
	global_load_dwordx4 v[37:40], v[41:42], off offset:100
	global_load_dword v59, v[41:42], off offset:116
	v_add_co_u32 v19, vcc_lo, s8, v47
	global_load_dword v60, v[45:46], off offset:116
	v_add_co_ci_u32_e32 v47, vcc_lo, s9, v48, vcc_lo
	v_add_co_u32 v49, vcc_lo, 0x800, v19
	v_mad_u32_u24 v19, v28, 5, 0xfffffbc8
	v_add_co_ci_u32_e32 v50, vcc_lo, 0, v47, vcc_lo
	s_clause 0x2
	global_load_dwordx4 v[41:44], v[45:46], off offset:100
	global_load_dword v61, v[49:50], off offset:116
	global_load_dwordx4 v[45:48], v[49:50], off offset:100
	v_lshlrev_b64 v[49:50], 2, v[19:20]
	v_add_co_u32 v19, vcc_lo, s8, v49
	v_add_co_ci_u32_e32 v49, vcc_lo, s9, v50, vcc_lo
	v_add_co_u32 v53, vcc_lo, 0x800, v19
	v_add_co_ci_u32_e32 v54, vcc_lo, 0, v49, vcc_lo
	v_mad_u32_u24 v19, v28, 5, 0xfffff9ac
	s_clause 0x1
	global_load_dwordx4 v[49:52], v[53:54], off offset:100
	global_load_dword v62, v[53:54], off offset:116
	v_lshlrev_b64 v[53:54], 2, v[19:20]
	v_add_co_u32 v19, vcc_lo, s8, v53
	v_add_co_ci_u32_e32 v53, vcc_lo, s9, v54, vcc_lo
	v_add_co_u32 v57, vcc_lo, 0x800, v19
	v_add_co_ci_u32_e32 v58, vcc_lo, 0, v53, vcc_lo
	s_clause 0x1
	global_load_dwordx4 v[53:56], v[57:58], off offset:100
	global_load_dword v19, v[57:58], off offset:116
	ds_read_u16 v57, v27 offset:5184
	ds_read_u16 v58, v27 offset:6264
	;; [unrolled: 1-line block ×25, first 2 shown]
	ds_read_u16 v86, v27
	ds_read_u16 v87, v27 offset:6048
	ds_read_u16 v88, v27 offset:5832
	;; [unrolled: 1-line block ×4, first 2 shown]
	s_waitcnt vmcnt(9)
	v_lshrrev_b32_e32 v90, 16, v37
	v_lshrrev_b32_e32 v91, 16, v38
	;; [unrolled: 1-line block ×4, first 2 shown]
	s_waitcnt lgkmcnt(26)
	v_mul_f16_e32 v94, v38, v64
	v_mul_f16_e32 v95, v40, v57
	s_waitcnt lgkmcnt(15)
	v_mul_f16_e32 v97, v39, v75
	v_mul_f16_e32 v99, v37, v69
	;; [unrolled: 1-line block ×6, first 2 shown]
	v_fmac_f16_e32 v94, v34, v91
	v_fma_f16 v38, v34, v38, -v64
	v_fma_f16 v37, v33, v37, -v69
	;; [unrolled: 1-line block ×3, first 2 shown]
	s_waitcnt vmcnt(4)
	v_lshrrev_b32_e32 v69, 16, v45
	v_lshrrev_b32_e32 v75, 16, v46
	;; [unrolled: 1-line block ×4, first 2 shown]
	v_fmac_f16_e32 v95, v36, v93
	v_mul_f16_e32 v93, v48, v71
	v_fmac_f16_e32 v97, v35, v92
	v_lshrrev_b32_e32 v35, 16, v61
	s_waitcnt lgkmcnt(14)
	v_mul_f16_e32 v92, v47, v76
	v_fmac_f16_e32 v99, v33, v90
	s_waitcnt lgkmcnt(3)
	v_mul_f16_e32 v33, v61, v87
	v_mul_f16_e32 v90, v45, v70
	v_lshrrev_b32_e32 v96, 16, v59
	v_mul_f16_e32 v98, v59, v58
	v_fma_f16 v40, v36, v40, -v57
	v_mul_f16_e32 v36, v46, v65
	v_mul_f16_e32 v65, v75, v65
	;; [unrolled: 1-line block ×3, first 2 shown]
	v_fmac_f16_e32 v93, v30, v91
	v_mul_f16_e32 v70, v69, v70
	v_mul_f16_e32 v76, v34, v76
	;; [unrolled: 1-line block ×3, first 2 shown]
	v_fmac_f16_e32 v92, v23, v34
	v_fmac_f16_e32 v33, v31, v35
	;; [unrolled: 1-line block ×3, first 2 shown]
	s_waitcnt vmcnt(3)
	v_lshrrev_b32_e32 v34, 16, v49
	v_lshrrev_b32_e32 v35, 16, v50
	;; [unrolled: 1-line block ×4, first 2 shown]
	v_mul_f16_e32 v58, v96, v58
	v_fmac_f16_e32 v98, v32, v96
	v_fmac_f16_e32 v36, v29, v75
	v_fma_f16 v29, v29, v46, -v65
	v_mul_f16_e32 v46, v50, v66
	v_fma_f16 v30, v30, v48, -v71
	v_mul_f16_e32 v48, v52, v72
	v_fma_f16 v22, v22, v45, -v70
	s_waitcnt vmcnt(2)
	v_lshrrev_b32_e32 v45, 16, v62
	v_fma_f16 v23, v23, v47, -v76
	v_mul_f16_e32 v47, v51, v77
	s_waitcnt lgkmcnt(2)
	v_mul_f16_e32 v65, v62, v88
	v_mul_f16_e32 v70, v49, v79
	;; [unrolled: 1-line block ×6, first 2 shown]
	v_add_f16_e32 v71, v94, v95
	v_fma_f16 v32, v32, v59, -v58
	v_sub_f16_e32 v58, v97, v98
	v_add_f16_e32 v59, v97, v98
	v_add_f16_e32 v76, v94, v82
	;; [unrolled: 1-line block ×3, first 2 shown]
	v_fma_f16 v31, v31, v61, -v87
	v_add_f16_e32 v61, v36, v93
	v_sub_f16_e32 v87, v92, v33
	v_fmac_f16_e32 v46, v18, v35
	v_add_f16_e32 v35, v92, v33
	v_fmac_f16_e32 v48, v21, v91
	v_add_f16_e32 v91, v36, v83
	v_add_f16_e32 v92, v90, v92
	v_mul_f16_e32 v88, v45, v88
	v_fmac_f16_e32 v47, v17, v69
	v_fmac_f16_e32 v65, v16, v45
	;; [unrolled: 1-line block ×3, first 2 shown]
	s_waitcnt vmcnt(1)
	v_lshrrev_b32_e32 v34, 16, v53
	v_lshrrev_b32_e32 v45, 16, v54
	;; [unrolled: 1-line block ×3, first 2 shown]
	v_fma_f16 v18, v18, v50, -v66
	v_lshrrev_b32_e32 v50, 16, v56
	v_fma_f16 v21, v21, v52, -v72
	v_mul_f16_e32 v52, v54, v67
	v_fma_f16 v15, v15, v49, -v79
	v_mul_f16_e32 v49, v56, v73
	v_fma_f16 v17, v17, v51, -v77
	s_waitcnt vmcnt(0)
	v_lshrrev_b32_e32 v51, 16, v19
	v_sub_f16_e32 v94, v94, v95
	v_sub_f16_e32 v36, v36, v93
	v_mul_f16_e32 v66, v55, v78
	s_waitcnt lgkmcnt(1)
	v_mul_f16_e32 v72, v19, v89
	v_mul_f16_e32 v77, v53, v80
	v_sub_f16_e32 v79, v38, v40
	v_fma_f16 v71, -0.5, v71, v82
	v_add_f16_e32 v82, v39, v32
	v_fma_f16 v59, -0.5, v59, v99
	v_sub_f16_e32 v99, v39, v32
	v_add_f16_e32 v76, v95, v76
	v_add_f16_e32 v95, v97, v98
	;; [unrolled: 1-line block ×5, first 2 shown]
	v_sub_f16_e32 v98, v29, v30
	v_fma_f16 v61, -0.5, v61, v83
	v_add_f16_e32 v83, v23, v31
	v_fma_f16 v35, -0.5, v35, v90
	v_sub_f16_e32 v90, v23, v31
	v_add_f16_e32 v91, v93, v91
	v_add_f16_e32 v33, v92, v33
	;; [unrolled: 1-line block ×6, first 2 shown]
	v_fma_f16 v16, v16, v62, -v88
	v_sub_f16_e32 v62, v47, v65
	v_add_f16_e32 v88, v47, v65
	v_mul_f16_e32 v67, v45, v67
	v_fmac_f16_e32 v52, v11, v45
	v_add_f16_e32 v45, v46, v84
	v_add_f16_e32 v47, v70, v47
	v_mul_f16_e32 v73, v50, v73
	v_fmac_f16_e32 v49, v12, v50
	v_mul_f16_e32 v50, v34, v80
	v_mul_f16_e32 v78, v69, v78
	;; [unrolled: 1-line block ×3, first 2 shown]
	v_sub_f16_e32 v46, v46, v48
	v_fmac_f16_e32 v66, v8, v69
	v_fmac_f16_e32 v72, v13, v51
	;; [unrolled: 1-line block ×3, first 2 shown]
	v_fmamk_f16 v34, v79, 0x3aee, v71
	v_fma_f16 v37, -0.5, v82, v37
	v_fmamk_f16 v51, v99, 0x3aee, v59
	v_fmac_f16_e32 v71, 0xbaee, v79
	v_fmac_f16_e32 v59, 0xbaee, v99
	v_sub_f16_e32 v69, v76, v95
	v_add_f16_e32 v38, v38, v40
	v_add_f16_e32 v32, v39, v32
	;; [unrolled: 1-line block ×3, first 2 shown]
	v_fma_f16 v22, -0.5, v83, v22
	v_fmamk_f16 v76, v90, 0x3aee, v35
	v_fmac_f16_e32 v35, 0xbaee, v90
	v_sub_f16_e32 v79, v91, v33
	v_fma_f16 v10, -0.5, v92, v10
	v_add_f16_e32 v29, v29, v30
	v_add_f16_e32 v23, v23, v31
	v_add_f16_e32 v30, v91, v33
	v_sub_f16_e32 v31, v18, v21
	v_fma_f16 v33, -0.5, v93, v84
	v_add_f16_e32 v82, v17, v16
	v_sub_f16_e32 v83, v17, v16
	v_fma_f16 v70, -0.5, v88, v70
	v_add_f16_e32 v45, v48, v45
	v_add_f16_e32 v47, v47, v65
	;; [unrolled: 1-line block ×4, first 2 shown]
	v_fma_f16 v8, v8, v55, -v78
	v_fma_f16 v13, v13, v19, -v80
	v_add_f16_e32 v18, v7, v18
	v_fma_f16 v11, v11, v54, -v67
	v_fma_f16 v12, v12, v56, -v73
	v_fma_f16 v9, v9, v53, -v50
	v_sub_f16_e32 v19, v66, v72
	v_add_f16_e32 v50, v66, v72
	v_add_f16_e32 v53, v52, v85
	;; [unrolled: 1-line block ×3, first 2 shown]
	v_fmamk_f16 v56, v58, 0xbaee, v37
	v_fmac_f16_e32 v37, 0x3aee, v58
	v_mul_f16_e32 v66, 0x3aee, v59
	v_sub_f16_e32 v67, v38, v32
	v_add_f16_e32 v32, v38, v32
	v_fmamk_f16 v38, v87, 0xbaee, v22
	v_fmac_f16_e32 v22, 0x3aee, v87
	v_fmamk_f16 v78, v36, 0xbaee, v10
	v_fmac_f16_e32 v10, 0x3aee, v36
	v_mul_f16_e32 v36, 0x3aee, v35
	v_sub_f16_e32 v80, v29, v23
	v_add_f16_e32 v23, v29, v23
	v_fmamk_f16 v29, v31, 0x3aee, v33
	v_fma_f16 v15, -0.5, v82, v15
	v_fmamk_f16 v82, v83, 0x3aee, v70
	v_fmac_f16_e32 v33, 0xbaee, v31
	v_fmac_f16_e32 v70, 0xbaee, v83
	v_sub_f16_e32 v31, v45, v47
	v_fma_f16 v7, -0.5, v48, v7
	v_add_f16_e32 v16, v17, v16
	v_add_f16_e32 v17, v45, v47
	;; [unrolled: 1-line block ×3, first 2 shown]
	v_fma_f16 v14, -0.5, v97, v14
	v_add_f16_e32 v54, v52, v49
	v_sub_f16_e32 v52, v52, v49
	v_mul_f16_e32 v65, -0.5, v51
	v_sub_f16_e32 v48, v8, v13
	v_fma_f16 v50, -0.5, v50, v77
	v_add_f16_e32 v49, v49, v53
	v_add_f16_e32 v53, v55, v72
	v_add_f16_e32 v8, v9, v8
	v_mul_f16_e32 v55, 0xbaee, v37
	v_fmac_f16_e32 v66, 0.5, v37
	v_mul_f16_e32 v37, 0xbaee, v22
	v_fmac_f16_e32 v36, 0.5, v22
	v_fmamk_f16 v22, v62, 0xbaee, v15
	v_fmac_f16_e32 v15, 0x3aee, v62
	v_fmamk_f16 v62, v46, 0xbaee, v7
	v_fmac_f16_e32 v7, 0x3aee, v46
	v_mul_f16_e32 v46, 0x3aee, v70
	v_fma_f16 v9, -0.5, v47, v9
	v_fmamk_f16 v58, v94, 0xbaee, v14
	v_fmac_f16_e32 v14, 0x3aee, v94
	v_fma_f16 v45, -0.5, v54, v85
	v_add_f16_e32 v54, v11, v12
	v_fmac_f16_e32 v65, 0xbaee, v56
	v_mul_f16_e32 v56, -0.5, v56
	v_fmamk_f16 v47, v48, 0x3aee, v50
	v_fmac_f16_e32 v37, 0.5, v35
	v_sub_f16_e32 v35, v10, v36
	v_add_f16_e32 v36, v10, v36
	v_mul_f16_e32 v10, 0xbaee, v15
	v_fmac_f16_e32 v46, 0.5, v15
	v_fmamk_f16 v15, v19, 0xbaee, v9
	v_fmac_f16_e32 v9, 0x3aee, v19
	v_lshrrev_b32_e32 v102, 16, v43
	v_lshrrev_b32_e32 v105, 16, v60
	v_add_f16_e32 v18, v18, v21
	v_sub_f16_e32 v21, v11, v12
	v_add_f16_e32 v11, v6, v11
	v_fmac_f16_e32 v50, 0xbaee, v48
	v_fma_f16 v6, -0.5, v54, v6
	v_fmac_f16_e32 v56, 0x3aee, v51
	v_sub_f16_e32 v48, v14, v66
	v_add_f16_e32 v14, v14, v66
	v_mul_f16_e32 v51, -0.5, v47
	v_sub_f16_e32 v66, v7, v46
	v_add_f16_e32 v46, v7, v46
	v_mul_f16_e32 v7, 0xbaee, v9
	v_lshrrev_b32_e32 v100, 16, v41
	v_mul_f16_e32 v57, v43, v63
	s_waitcnt lgkmcnt(0)
	v_mul_f16_e32 v64, v60, v27
	v_mul_f16_e32 v63, v102, v63
	;; [unrolled: 1-line block ×3, first 2 shown]
	v_sub_f16_e32 v77, v18, v16
	v_add_f16_e32 v16, v18, v16
	v_fmamk_f16 v18, v21, 0x3aee, v45
	v_fmac_f16_e32 v45, 0xbaee, v21
	v_fmamk_f16 v19, v52, 0xbaee, v6
	v_fmac_f16_e32 v6, 0x3aee, v52
	v_mul_f16_e32 v52, 0x3aee, v50
	v_fmac_f16_e32 v51, 0xbaee, v15
	v_mul_f16_e32 v15, -0.5, v15
	v_fmac_f16_e32 v7, 0.5, v50
	v_mul_f16_e32 v75, v100, v81
	v_fmac_f16_e32 v10, 0.5, v70
	v_fmac_f16_e32 v52, 0.5, v9
	v_fmac_f16_e32 v15, 0x3aee, v47
	v_sub_f16_e32 v47, v18, v51
	v_add_f16_e32 v18, v18, v51
	v_sub_f16_e32 v51, v45, v7
	v_add_f16_e32 v45, v45, v7
	v_fma_f16 v7, v4, v43, -v63
	v_fma_f16 v9, v5, v60, -v27
	v_lshrrev_b32_e32 v101, 16, v42
	v_lshrrev_b32_e32 v103, 16, v44
	v_mul_f16_e32 v104, v42, v68
	v_fmac_f16_e32 v64, v5, v105
	v_mul_f16_e32 v5, v44, v74
	v_sub_f16_e32 v70, v33, v10
	v_add_f16_e32 v33, v33, v10
	v_fmac_f16_e32 v57, v4, v102
	v_mul_f16_e32 v4, v41, v81
	v_fma_f16 v10, v2, v41, -v75
	v_add_f16_e32 v27, v7, v9
	v_mul_f16_e32 v68, v101, v68
	v_mul_f16_e32 v96, v103, v74
	v_mul_f16_e32 v72, -0.5, v82
	v_fmac_f16_e32 v104, v1, v101
	v_fmac_f16_e32 v5, v3, v103
	;; [unrolled: 1-line block ×3, first 2 shown]
	v_add_f16_e32 v2, v57, v64
	v_fma_f16 v27, -0.5, v27, v10
	v_sub_f16_e32 v43, v57, v64
	v_fmac_f16_e32 v72, 0xbaee, v22
	v_mul_f16_e32 v22, -0.5, v22
	v_fma_f16 v1, v1, v42, -v68
	v_fma_f16 v3, v3, v44, -v96
	v_add_f16_e32 v42, v104, v5
	v_sub_f16_e32 v41, v7, v9
	v_fma_f16 v2, -0.5, v2, v4
	v_fmamk_f16 v60, v43, 0xbaee, v27
	v_fmac_f16_e32 v27, 0x3aee, v43
	v_fmac_f16_e32 v55, 0.5, v59
	v_fmac_f16_e32 v22, 0x3aee, v82
	v_sub_f16_e32 v43, v1, v3
	v_fma_f16 v42, -0.5, v42, v86
	v_fmamk_f16 v44, v41, 0x3aee, v2
	v_fmac_f16_e32 v2, 0xbaee, v41
	v_mul_f16_e32 v41, 0xbaee, v27
	v_sub_f16_e32 v54, v71, v55
	v_add_f16_e32 v55, v71, v55
	v_sub_f16_e32 v71, v62, v22
	v_add_f16_e32 v22, v62, v22
	v_sub_f16_e32 v50, v6, v52
	v_sub_f16_e32 v62, v19, v15
	v_add_f16_e32 v15, v19, v15
	v_fmamk_f16 v19, v43, 0x3aee, v42
	v_fmac_f16_e32 v42, 0xbaee, v43
	v_add_f16_e32 v43, v6, v52
	v_add_f16_e32 v6, v1, v3
	v_fmac_f16_e32 v41, 0.5, v2
	v_mul_f16_e32 v2, 0x3aee, v2
	v_mul_f16_e32 v63, -0.5, v44
	v_add_f16_e32 v68, v104, v86
	v_add_f16_e32 v4, v4, v57
	v_fma_f16 v6, -0.5, v6, v0
	v_add_f16_e32 v0, v0, v1
	v_add_f16_e32 v1, v10, v7
	v_fmac_f16_e32 v2, 0.5, v27
	v_mov_b32_e32 v27, v20
	v_fmac_f16_e32 v63, 0xbaee, v60
	v_sub_f16_e32 v57, v104, v5
	v_mul_f16_e32 v60, -0.5, v60
	v_add_f16_e32 v5, v5, v68
	v_add_f16_e32 v4, v4, v64
	;; [unrolled: 1-line block ×4, first 2 shown]
	v_lshlrev_b64 v[0:1], 2, v[26:27]
	v_fmamk_f16 v64, v57, 0xbaee, v6
	v_fmac_f16_e32 v60, 0x3aee, v44
	v_fmac_f16_e32 v6, 0x3aee, v57
	v_sub_f16_e32 v44, v5, v4
	v_add_f16_e32 v4, v5, v4
	v_add_co_u32 v5, vcc_lo, s2, v24
	v_add_co_ci_u32_e32 v24, vcc_lo, s3, v25, vcc_lo
	v_add_f16_e32 v25, v3, v7
	v_add_f16_e32 v11, v11, v12
	;; [unrolled: 1-line block ×3, first 2 shown]
	v_sub_f16_e32 v57, v6, v2
	v_add_f16_e32 v9, v42, v41
	v_add_co_u32 v0, vcc_lo, v5, v0
	v_add_f16_e32 v2, v6, v2
	v_add_co_ci_u32_e32 v1, vcc_lo, v24, v1, vcc_lo
	v_pack_b32_f16 v4, v25, v4
	v_sub_f16_e32 v21, v49, v53
	v_add_f16_e32 v12, v49, v53
	v_sub_f16_e32 v53, v11, v8
	v_add_f16_e32 v52, v11, v8
	v_sub_f16_e32 v11, v19, v63
	v_sub_f16_e32 v6, v3, v7
	v_add_f16_e32 v5, v19, v63
	v_add_f16_e32 v7, v64, v60
	v_pack_b32_f16 v19, v2, v9
	v_add_co_u32 v2, vcc_lo, 0x800, v0
	v_add_co_ci_u32_e32 v3, vcc_lo, 0, v1, vcc_lo
	global_store_dword v[0:1], v4, off
	v_add_co_u32 v4, vcc_lo, 0x1000, v0
	v_sub_f16_e32 v8, v42, v41
	v_pack_b32_f16 v24, v7, v5
	v_add_co_ci_u32_e32 v5, vcc_lo, 0, v1, vcc_lo
	v_pack_b32_f16 v25, v6, v44
	v_add_co_u32 v6, vcc_lo, 0x1800, v0
	v_sub_f16_e32 v10, v64, v60
	v_add_co_ci_u32_e32 v7, vcc_lo, 0, v1, vcc_lo
	v_pack_b32_f16 v26, v57, v8
	v_add_co_u32 v8, vcc_lo, 0x2000, v0
	v_add_co_ci_u32_e32 v9, vcc_lo, 0, v1, vcc_lo
	v_pack_b32_f16 v27, v10, v11
	v_add_co_u32 v10, vcc_lo, 0x2800, v0
	v_add_co_ci_u32_e32 v11, vcc_lo, 0, v1, vcc_lo
	v_pack_b32_f16 v12, v52, v12
	v_fmamk_f16 v40, v98, 0x3aee, v61
	v_fmac_f16_e32 v61, 0xbaee, v98
	global_store_dword v[2:3], v19, off offset:112
	global_store_dword v[4:5], v24, off offset:224
	;; [unrolled: 1-line block ×5, first 2 shown]
	v_pack_b32_f16 v19, v43, v45
	v_pack_b32_f16 v15, v15, v18
	;; [unrolled: 1-line block ×4, first 2 shown]
	global_store_dword v[0:1], v12, off offset:432
	global_store_dword v[2:3], v19, off offset:544
	;; [unrolled: 1-line block ×5, first 2 shown]
	v_pack_b32_f16 v15, v16, v17
	v_mul_hi_u32 v17, 0xf2b9d649, v28
	v_sub_f16_e32 v59, v58, v56
	v_add_f16_e32 v56, v58, v56
	v_sub_f16_e32 v58, v61, v37
	v_add_f16_e32 v37, v61, v37
	;; [unrolled: 2-line block ×3, first 2 shown]
	v_pack_b32_f16 v12, v62, v47
	v_mul_f16_e32 v73, -0.5, v76
	v_pack_b32_f16 v16, v46, v33
	v_pack_b32_f16 v19, v77, v31
	;; [unrolled: 1-line block ×3, first 2 shown]
	global_store_dword v[10:11], v12, off offset:992
	global_store_dword v[0:1], v15, off offset:864
	;; [unrolled: 1-line block ×5, first 2 shown]
	v_lshrrev_b32_e32 v12, 9, v17
	v_fmac_f16_e32 v73, 0xbaee, v38
	v_mul_f16_e32 v38, -0.5, v38
	v_pack_b32_f16 v15, v66, v70
	v_pack_b32_f16 v16, v71, v61
	v_mul_u32_u24_e32 v19, 0xa8c, v12
	v_pack_b32_f16 v17, v23, v30
	v_fmac_f16_e32 v38, 0x3aee, v76
	v_pack_b32_f16 v18, v36, v37
	global_store_dword v[8:9], v15, off offset:1312
	global_store_dword v[10:11], v16, off offset:1424
	;; [unrolled: 1-line block ×4, first 2 shown]
	v_lshlrev_b64 v[2:3], 2, v[19:20]
	v_sub_f16_e32 v13, v34, v65
	v_add_f16_e32 v34, v34, v65
	v_sub_f16_e32 v49, v40, v73
	v_add_f16_e32 v40, v40, v73
	;; [unrolled: 2-line block ×3, first 2 shown]
	v_add_co_u32 v0, vcc_lo, v0, v2
	v_pack_b32_f16 v15, v80, v79
	v_pack_b32_f16 v16, v35, v58
	;; [unrolled: 1-line block ×3, first 2 shown]
	v_add_co_ci_u32_e32 v1, vcc_lo, v1, v3, vcc_lo
	v_pack_b32_f16 v17, v65, v49
	v_pack_b32_f16 v2, v32, v39
	global_store_dword v[4:5], v12, off offset:1520
	global_store_dword v[6:7], v15, off offset:1632
	;; [unrolled: 1-line block ×5, first 2 shown]
	v_add_co_u32 v2, vcc_lo, 0x800, v0
	v_add_co_ci_u32_e32 v3, vcc_lo, 0, v1, vcc_lo
	v_add_co_u32 v4, vcc_lo, 0x1000, v0
	v_add_co_ci_u32_e32 v5, vcc_lo, 0, v1, vcc_lo
	;; [unrolled: 2-line block ×3, first 2 shown]
	v_add_co_u32 v8, vcc_lo, 0x2800, v0
	v_pack_b32_f16 v10, v14, v55
	v_pack_b32_f16 v11, v56, v34
	v_add_co_ci_u32_e32 v9, vcc_lo, 0, v1, vcc_lo
	v_pack_b32_f16 v12, v67, v69
	v_add_co_u32 v0, vcc_lo, 0x3000, v0
	v_pack_b32_f16 v14, v48, v54
	v_pack_b32_f16 v13, v59, v13
	v_add_co_ci_u32_e32 v1, vcc_lo, 0, v1, vcc_lo
	global_store_dword v[2:3], v10, off offset:1840
	global_store_dword v[4:5], v11, off offset:1952
	;; [unrolled: 1-line block ×5, first 2 shown]
.LBB0_13:
	s_endpgm
	.section	.rodata,"a",@progbits
	.p2align	6, 0x0
	.amdhsa_kernel fft_rtc_fwd_len3240_factors_3_3_10_6_6_wgs_108_tpt_108_halfLds_half_ip_CI_unitstride_sbrr_dirReg
		.amdhsa_group_segment_fixed_size 0
		.amdhsa_private_segment_fixed_size 0
		.amdhsa_kernarg_size 88
		.amdhsa_user_sgpr_count 6
		.amdhsa_user_sgpr_private_segment_buffer 1
		.amdhsa_user_sgpr_dispatch_ptr 0
		.amdhsa_user_sgpr_queue_ptr 0
		.amdhsa_user_sgpr_kernarg_segment_ptr 1
		.amdhsa_user_sgpr_dispatch_id 0
		.amdhsa_user_sgpr_flat_scratch_init 0
		.amdhsa_user_sgpr_private_segment_size 0
		.amdhsa_wavefront_size32 1
		.amdhsa_uses_dynamic_stack 0
		.amdhsa_system_sgpr_private_segment_wavefront_offset 0
		.amdhsa_system_sgpr_workgroup_id_x 1
		.amdhsa_system_sgpr_workgroup_id_y 0
		.amdhsa_system_sgpr_workgroup_id_z 0
		.amdhsa_system_sgpr_workgroup_info 0
		.amdhsa_system_vgpr_workitem_id 0
		.amdhsa_next_free_vgpr 111
		.amdhsa_next_free_sgpr 21
		.amdhsa_reserve_vcc 1
		.amdhsa_reserve_flat_scratch 0
		.amdhsa_float_round_mode_32 0
		.amdhsa_float_round_mode_16_64 0
		.amdhsa_float_denorm_mode_32 3
		.amdhsa_float_denorm_mode_16_64 3
		.amdhsa_dx10_clamp 1
		.amdhsa_ieee_mode 1
		.amdhsa_fp16_overflow 0
		.amdhsa_workgroup_processor_mode 1
		.amdhsa_memory_ordered 1
		.amdhsa_forward_progress 0
		.amdhsa_shared_vgpr_count 0
		.amdhsa_exception_fp_ieee_invalid_op 0
		.amdhsa_exception_fp_denorm_src 0
		.amdhsa_exception_fp_ieee_div_zero 0
		.amdhsa_exception_fp_ieee_overflow 0
		.amdhsa_exception_fp_ieee_underflow 0
		.amdhsa_exception_fp_ieee_inexact 0
		.amdhsa_exception_int_div_zero 0
	.end_amdhsa_kernel
	.text
.Lfunc_end0:
	.size	fft_rtc_fwd_len3240_factors_3_3_10_6_6_wgs_108_tpt_108_halfLds_half_ip_CI_unitstride_sbrr_dirReg, .Lfunc_end0-fft_rtc_fwd_len3240_factors_3_3_10_6_6_wgs_108_tpt_108_halfLds_half_ip_CI_unitstride_sbrr_dirReg
                                        ; -- End function
	.section	.AMDGPU.csdata,"",@progbits
; Kernel info:
; codeLenInByte = 17940
; NumSgprs: 23
; NumVgprs: 111
; ScratchSize: 0
; MemoryBound: 0
; FloatMode: 240
; IeeeMode: 1
; LDSByteSize: 0 bytes/workgroup (compile time only)
; SGPRBlocks: 2
; VGPRBlocks: 13
; NumSGPRsForWavesPerEU: 23
; NumVGPRsForWavesPerEU: 111
; Occupancy: 9
; WaveLimiterHint : 1
; COMPUTE_PGM_RSRC2:SCRATCH_EN: 0
; COMPUTE_PGM_RSRC2:USER_SGPR: 6
; COMPUTE_PGM_RSRC2:TRAP_HANDLER: 0
; COMPUTE_PGM_RSRC2:TGID_X_EN: 1
; COMPUTE_PGM_RSRC2:TGID_Y_EN: 0
; COMPUTE_PGM_RSRC2:TGID_Z_EN: 0
; COMPUTE_PGM_RSRC2:TIDIG_COMP_CNT: 0
	.text
	.p2alignl 6, 3214868480
	.fill 48, 4, 3214868480
	.type	__hip_cuid_f438184b5d904dfd,@object ; @__hip_cuid_f438184b5d904dfd
	.section	.bss,"aw",@nobits
	.globl	__hip_cuid_f438184b5d904dfd
__hip_cuid_f438184b5d904dfd:
	.byte	0                               ; 0x0
	.size	__hip_cuid_f438184b5d904dfd, 1

	.ident	"AMD clang version 19.0.0git (https://github.com/RadeonOpenCompute/llvm-project roc-6.4.0 25133 c7fe45cf4b819c5991fe208aaa96edf142730f1d)"
	.section	".note.GNU-stack","",@progbits
	.addrsig
	.addrsig_sym __hip_cuid_f438184b5d904dfd
	.amdgpu_metadata
---
amdhsa.kernels:
  - .args:
      - .actual_access:  read_only
        .address_space:  global
        .offset:         0
        .size:           8
        .value_kind:     global_buffer
      - .offset:         8
        .size:           8
        .value_kind:     by_value
      - .actual_access:  read_only
        .address_space:  global
        .offset:         16
        .size:           8
        .value_kind:     global_buffer
      - .actual_access:  read_only
        .address_space:  global
        .offset:         24
        .size:           8
        .value_kind:     global_buffer
      - .offset:         32
        .size:           8
        .value_kind:     by_value
      - .actual_access:  read_only
        .address_space:  global
        .offset:         40
        .size:           8
        .value_kind:     global_buffer
      - .actual_access:  read_only
        .address_space:  global
        .offset:         48
        .size:           8
        .value_kind:     global_buffer
      - .offset:         56
        .size:           4
        .value_kind:     by_value
      - .actual_access:  read_only
        .address_space:  global
        .offset:         64
        .size:           8
        .value_kind:     global_buffer
      - .actual_access:  read_only
        .address_space:  global
        .offset:         72
        .size:           8
        .value_kind:     global_buffer
      - .address_space:  global
        .offset:         80
        .size:           8
        .value_kind:     global_buffer
    .group_segment_fixed_size: 0
    .kernarg_segment_align: 8
    .kernarg_segment_size: 88
    .language:       OpenCL C
    .language_version:
      - 2
      - 0
    .max_flat_workgroup_size: 108
    .name:           fft_rtc_fwd_len3240_factors_3_3_10_6_6_wgs_108_tpt_108_halfLds_half_ip_CI_unitstride_sbrr_dirReg
    .private_segment_fixed_size: 0
    .sgpr_count:     23
    .sgpr_spill_count: 0
    .symbol:         fft_rtc_fwd_len3240_factors_3_3_10_6_6_wgs_108_tpt_108_halfLds_half_ip_CI_unitstride_sbrr_dirReg.kd
    .uniform_work_group_size: 1
    .uses_dynamic_stack: false
    .vgpr_count:     111
    .vgpr_spill_count: 0
    .wavefront_size: 32
    .workgroup_processor_mode: 1
amdhsa.target:   amdgcn-amd-amdhsa--gfx1030
amdhsa.version:
  - 1
  - 2
...

	.end_amdgpu_metadata
